;; amdgpu-corpus repo=ROCm/rocFFT kind=compiled arch=gfx1201 opt=O3
	.text
	.amdgcn_target "amdgcn-amd-amdhsa--gfx1201"
	.amdhsa_code_object_version 6
	.protected	bluestein_single_back_len660_dim1_sp_op_CI_CI ; -- Begin function bluestein_single_back_len660_dim1_sp_op_CI_CI
	.globl	bluestein_single_back_len660_dim1_sp_op_CI_CI
	.p2align	8
	.type	bluestein_single_back_len660_dim1_sp_op_CI_CI,@function
bluestein_single_back_len660_dim1_sp_op_CI_CI: ; @bluestein_single_back_len660_dim1_sp_op_CI_CI
; %bb.0:
	s_load_b128 s[8:11], s[0:1], 0x28
	v_mul_u32_u24_e32 v1, 0x254, v0
	s_mov_b32 s2, exec_lo
	v_mov_b32_e32 v53, 0
	s_delay_alu instid0(VALU_DEP_2) | instskip(NEXT) | instid1(VALU_DEP_1)
	v_lshrrev_b32_e32 v1, 16, v1
	v_add_nc_u32_e32 v52, ttmp9, v1
	s_wait_kmcnt 0x0
	s_delay_alu instid0(VALU_DEP_1)
	v_cmpx_gt_u64_e64 s[8:9], v[52:53]
	s_cbranch_execz .LBB0_23
; %bb.1:
	s_clause 0x1
	s_load_b64 s[12:13], s[0:1], 0x0
	s_load_b64 s[8:9], s[0:1], 0x38
	v_mul_lo_u16 v1, 0x6e, v1
	s_delay_alu instid0(VALU_DEP_1) | instskip(NEXT) | instid1(VALU_DEP_1)
	v_sub_nc_u16 v0, v0, v1
	v_and_b32_e32 v59, 0xffff, v0
	v_cmp_gt_u16_e32 vcc_lo, 60, v0
	s_delay_alu instid0(VALU_DEP_2)
	v_lshlrev_b32_e32 v60, 3, v59
	s_and_saveexec_b32 s3, vcc_lo
	s_cbranch_execz .LBB0_3
; %bb.2:
	s_load_b64 s[4:5], s[0:1], 0x18
	s_delay_alu instid0(VALU_DEP_1)
	v_add_nc_u32_e32 v46, 0x400, v60
	v_add_nc_u32_e32 v47, 0x800, v60
	;; [unrolled: 1-line block ×3, first 2 shown]
	s_wait_kmcnt 0x0
	s_load_b128 s[4:7], s[4:5], 0x0
	s_wait_kmcnt 0x0
	v_mad_co_u64_u32 v[0:1], null, s6, v52, 0
	v_mad_co_u64_u32 v[2:3], null, s4, v59, 0
	s_delay_alu instid0(VALU_DEP_1) | instskip(NEXT) | instid1(VALU_DEP_1)
	v_mad_co_u64_u32 v[4:5], null, s7, v52, v[1:2]
	v_mad_co_u64_u32 v[5:6], null, s5, v59, v[3:4]
	v_mov_b32_e32 v1, v4
	s_mul_u64 s[4:5], s[4:5], 0x1e0
	s_delay_alu instid0(VALU_DEP_1) | instskip(NEXT) | instid1(VALU_DEP_3)
	v_lshlrev_b64_e32 v[0:1], 3, v[0:1]
	v_mov_b32_e32 v3, v5
	s_delay_alu instid0(VALU_DEP_1) | instskip(NEXT) | instid1(VALU_DEP_3)
	v_lshlrev_b64_e32 v[2:3], 3, v[2:3]
	v_add_co_u32 v10, s2, s10, v0
	s_delay_alu instid0(VALU_DEP_1)
	v_add_co_ci_u32_e64 v11, s2, s11, v1, s2
	s_clause 0x3
	global_load_b64 v[0:1], v60, s[12:13]
	global_load_b64 v[4:5], v60, s[12:13] offset:480
	global_load_b64 v[6:7], v60, s[12:13] offset:960
	;; [unrolled: 1-line block ×3, first 2 shown]
	v_add_co_u32 v2, s2, v10, v2
	s_wait_alu 0xf1ff
	v_add_co_ci_u32_e64 v3, s2, v11, v3, s2
	s_clause 0x3
	global_load_b64 v[12:13], v60, s[12:13] offset:1920
	global_load_b64 v[14:15], v60, s[12:13] offset:2400
	;; [unrolled: 1-line block ×4, first 2 shown]
	s_wait_alu 0xfffe
	v_add_co_u32 v10, s2, v2, s4
	s_wait_alu 0xf1ff
	v_add_co_ci_u32_e64 v11, s2, s5, v3, s2
	global_load_b64 v[22:23], v60, s[12:13] offset:3840
	v_add_co_u32 v20, s2, v10, s4
	s_wait_alu 0xf1ff
	v_add_co_ci_u32_e64 v21, s2, s5, v11, s2
	s_clause 0x1
	global_load_b64 v[2:3], v[2:3], off
	global_load_b64 v[10:11], v[10:11], off
	v_add_co_u32 v24, s2, v20, s4
	s_wait_alu 0xf1ff
	v_add_co_ci_u32_e64 v25, s2, s5, v21, s2
	s_delay_alu instid0(VALU_DEP_2) | instskip(SKIP_1) | instid1(VALU_DEP_2)
	v_add_co_u32 v26, s2, v24, s4
	s_wait_alu 0xf1ff
	v_add_co_ci_u32_e64 v27, s2, s5, v25, s2
	s_clause 0x1
	global_load_b64 v[20:21], v[20:21], off
	global_load_b64 v[24:25], v[24:25], off
	v_add_co_u32 v28, s2, v26, s4
	s_wait_alu 0xf1ff
	v_add_co_ci_u32_e64 v29, s2, s5, v27, s2
	global_load_b64 v[26:27], v[26:27], off
	v_add_co_u32 v30, s2, v28, s4
	s_wait_alu 0xf1ff
	v_add_co_ci_u32_e64 v31, s2, s5, v29, s2
	;; [unrolled: 4-line block ×6, first 2 shown]
	global_load_b64 v[36:37], v[36:37], off
	s_clause 0x1
	global_load_b64 v[40:41], v60, s[12:13] offset:4320
	global_load_b64 v[42:43], v60, s[12:13] offset:4800
	global_load_b64 v[38:39], v[38:39], off
	s_wait_loadcnt 0xc
	v_mul_f32_e32 v44, v3, v1
	v_mul_f32_e32 v45, v2, v1
	s_wait_loadcnt 0xb
	v_mul_f32_e32 v1, v11, v5
	v_mul_f32_e32 v5, v10, v5
	v_fmac_f32_e32 v44, v2, v0
	v_fma_f32 v45, v3, v0, -v45
	s_delay_alu instid0(VALU_DEP_3) | instskip(SKIP_4) | instid1(VALU_DEP_2)
	v_fma_f32 v2, v11, v4, -v5
	s_wait_loadcnt 0xa
	v_dual_mul_f32 v0, v21, v7 :: v_dual_fmac_f32 v1, v10, v4
	s_wait_loadcnt 0x9
	v_dual_mul_f32 v4, v20, v7 :: v_dual_mul_f32 v3, v25, v9
	v_fmac_f32_e32 v0, v20, v6
	ds_store_2addr_b64 v60, v[44:45], v[1:2] offset1:60
	v_mul_f32_e32 v2, v24, v9
	v_fma_f32 v1, v21, v6, -v4
	s_wait_loadcnt 0x8
	v_mul_f32_e32 v5, v27, v13
	s_wait_loadcnt 0x7
	v_dual_mul_f32 v6, v26, v13 :: v_dual_mul_f32 v7, v29, v15
	v_fma_f32 v4, v25, v8, -v2
	v_mul_f32_e32 v2, v28, v15
	v_fmac_f32_e32 v3, v24, v8
	v_fmac_f32_e32 v5, v26, v12
	;; [unrolled: 1-line block ×3, first 2 shown]
	s_wait_loadcnt 0x6
	v_mul_f32_e32 v9, v31, v17
	v_fma_f32 v8, v29, v14, -v2
	v_mul_f32_e32 v2, v30, v17
	v_fma_f32 v6, v27, v12, -v6
	s_wait_loadcnt 0x5
	v_mul_f32_e32 v11, v33, v19
	v_mul_f32_e32 v12, v32, v19
	v_fma_f32 v10, v31, v16, -v2
	s_wait_loadcnt 0x4
	v_mul_f32_e32 v2, v34, v23
	v_fmac_f32_e32 v9, v30, v16
	v_mul_f32_e32 v13, v35, v23
	s_wait_loadcnt 0x2
	v_mul_f32_e32 v15, v37, v41
	v_mul_f32_e32 v16, v36, v41
	v_fmac_f32_e32 v11, v32, v18
	v_fma_f32 v12, v33, v18, -v12
	s_wait_loadcnt 0x0
	v_mul_f32_e32 v18, v38, v43
	v_mul_f32_e32 v17, v39, v43
	v_fmac_f32_e32 v13, v34, v22
	v_fma_f32 v14, v35, v22, -v2
	v_fmac_f32_e32 v15, v36, v40
	v_fma_f32 v16, v37, v40, -v16
	;; [unrolled: 2-line block ×3, first 2 shown]
	ds_store_2addr_b64 v60, v[0:1], v[3:4] offset0:120 offset1:180
	ds_store_2addr_b64 v46, v[5:6], v[7:8] offset0:112 offset1:172
	;; [unrolled: 1-line block ×4, first 2 shown]
	ds_store_b64 v60, v[17:18] offset:4800
.LBB0_3:
	s_or_b32 exec_lo, exec_lo, s3
	s_load_b64 s[2:3], s[0:1], 0x20
	v_mov_b32_e32 v8, 0
	v_mov_b32_e32 v9, 0
	global_wb scope:SCOPE_SE
	s_wait_dscnt 0x0
	s_wait_kmcnt 0x0
	s_barrier_signal -1
	s_barrier_wait -1
	global_inv scope:SCOPE_SE
                                        ; implicit-def: $vgpr4
                                        ; implicit-def: $vgpr0
                                        ; implicit-def: $vgpr20
                                        ; implicit-def: $vgpr14
                                        ; implicit-def: $vgpr18
	s_and_saveexec_b32 s4, vcc_lo
	s_cbranch_execz .LBB0_5
; %bb.4:
	v_add_nc_u32_e32 v0, 0x400, v60
	v_add_nc_u32_e32 v1, 0x800, v60
	;; [unrolled: 1-line block ×3, first 2 shown]
	ds_load_2addr_b64 v[8:11], v60 offset1:60
	ds_load_2addr_b64 v[16:19], v60 offset0:120 offset1:180
	ds_load_2addr_b64 v[12:15], v0 offset0:112 offset1:172
	;; [unrolled: 1-line block ×4, first 2 shown]
	ds_load_b64 v[20:21], v60 offset:4800
.LBB0_5:
	s_wait_alu 0xfffe
	s_or_b32 exec_lo, exec_lo, s4
	s_wait_dscnt 0x0
	v_dual_sub_f32 v24, v11, v21 :: v_dual_sub_f32 v25, v10, v20
	v_dual_add_f32 v65, v20, v10 :: v_dual_add_f32 v66, v21, v11
	v_dual_sub_f32 v93, v12, v6 :: v_dual_add_f32 v78, v6, v12
	s_delay_alu instid0(VALU_DEP_3) | instskip(SKIP_2) | instid1(VALU_DEP_3)
	v_dual_mul_f32 v22, 0xbf0a6770, v24 :: v_dual_mul_f32 v23, 0xbf0a6770, v25
	v_dual_mul_f32 v45, 0xbf4178ce, v24 :: v_dual_mul_f32 v48, 0xbf4178ce, v25
	v_dual_mul_f32 v36, 0xbf68dda4, v25 :: v_dual_sub_f32 v61, v17, v3
	v_fma_f32 v27, 0x3f575c64, v66, -v23
	v_mul_f32_e32 v34, 0xbf68dda4, v24
	s_delay_alu instid0(VALU_DEP_4) | instskip(NEXT) | instid1(VALU_DEP_4)
	v_fma_f32 v35, 0xbf27a4f4, v66, -v48
	v_dual_sub_f32 v86, v16, v2 :: v_dual_mul_f32 v39, 0xbf4178ce, v61
	s_delay_alu instid0(VALU_DEP_4) | instskip(SKIP_1) | instid1(VALU_DEP_4)
	v_add_f32_e32 v27, v27, v9
	v_mul_f32_e32 v40, 0xbf7d64f0, v25
	v_dual_fmamk_f32 v28, v65, 0x3ed4b147, v34 :: v_dual_add_f32 v43, v35, v9
	v_fma_f32 v29, 0x3ed4b147, v66, -v36
	v_add_f32_e32 v73, v3, v17
	s_delay_alu instid0(VALU_DEP_4) | instskip(SKIP_3) | instid1(VALU_DEP_3)
	v_fma_f32 v31, 0xbe11bafb, v66, -v40
	v_fmamk_f32 v26, v65, 0x3f575c64, v22
	v_dual_fmamk_f32 v33, v65, 0xbf27a4f4, v45 :: v_dual_add_f32 v28, v28, v8
	v_dual_mul_f32 v38, 0xbf7d64f0, v24 :: v_dual_add_f32 v29, v29, v9
	v_dual_add_f32 v31, v31, v9 :: v_dual_add_f32 v26, v26, v8
	s_delay_alu instid0(VALU_DEP_3) | instskip(SKIP_2) | instid1(VALU_DEP_3)
	v_dual_add_f32 v42, v33, v8 :: v_dual_mul_f32 v41, 0xbf4178ce, v86
	v_dual_mul_f32 v44, 0x3e903f40, v61 :: v_dual_mul_f32 v55, 0x3e903f40, v86
	v_dual_add_f32 v72, v2, v16 :: v_dual_mul_f32 v33, 0xbf68dda4, v86
	v_fma_f32 v46, 0xbf27a4f4, v73, -v41
	v_dual_fmamk_f32 v30, v65, 0xbe11bafb, v38 :: v_dual_sub_f32 v89, v19, v1
	v_dual_mul_f32 v68, 0x3f7d64f0, v86 :: v_dual_sub_f32 v97, v14, v4
	s_delay_alu instid0(VALU_DEP_3) | instskip(SKIP_2) | instid1(VALU_DEP_4)
	v_dual_add_f32 v82, v5, v15 :: v_dual_add_f32 v29, v46, v29
	v_fma_f32 v46, 0xbf75a155, v73, -v55
	v_mul_f32_e32 v32, 0xbf68dda4, v61
	v_fma_f32 v49, 0xbe11bafb, v73, -v68
	v_mul_f32_e32 v62, 0x3f7d64f0, v61
	s_delay_alu instid0(VALU_DEP_4) | instskip(NEXT) | instid1(VALU_DEP_4)
	v_dual_mul_f32 v88, 0x3f0a6770, v61 :: v_dual_add_f32 v31, v46, v31
	v_dual_add_f32 v30, v30, v8 :: v_dual_fmamk_f32 v35, v72, 0x3ed4b147, v32
	v_fmamk_f32 v37, v72, 0xbf27a4f4, v39
	v_fmamk_f32 v47, v72, 0xbf75a155, v44
	v_dual_add_f32 v77, v49, v43 :: v_dual_sub_f32 v90, v18, v0
	s_delay_alu instid0(VALU_DEP_4) | instskip(SKIP_4) | instid1(VALU_DEP_4)
	v_add_f32_e32 v26, v35, v26
	v_fma_f32 v35, 0x3ed4b147, v73, -v33
	v_add_f32_e32 v28, v37, v28
	v_dual_add_f32 v30, v47, v30 :: v_dual_fmamk_f32 v47, v72, 0xbe11bafb, v62
	v_dual_add_f32 v76, v1, v19 :: v_dual_mul_f32 v37, 0xbf7d64f0, v90
	v_add_f32_e32 v27, v35, v27
	v_mul_f32_e32 v35, 0xbf7d64f0, v89
	v_dual_mul_f32 v46, 0x3e903f40, v89 :: v_dual_mul_f32 v49, 0x3e903f40, v90
	s_delay_alu instid0(VALU_DEP_4) | instskip(SKIP_3) | instid1(VALU_DEP_4)
	v_fma_f32 v43, 0xbe11bafb, v76, -v37
	v_add_f32_e32 v74, v0, v18
	v_add_f32_e32 v42, v47, v42
	v_dual_mul_f32 v56, 0x3f68dda4, v89 :: v_dual_mul_f32 v63, 0x3f68dda4, v90
	v_add_f32_e32 v27, v43, v27
	v_fma_f32 v47, 0xbf75a155, v76, -v49
	v_fmamk_f32 v50, v74, 0xbe11bafb, v35
	v_fmamk_f32 v43, v74, 0xbf75a155, v46
	v_mul_f32_e32 v67, 0xbf0a6770, v89
	v_fma_f32 v51, 0x3ed4b147, v76, -v63
	s_delay_alu instid0(VALU_DEP_4) | instskip(SKIP_1) | instid1(VALU_DEP_4)
	v_dual_add_f32 v29, v47, v29 :: v_dual_add_f32 v26, v50, v26
	v_fmamk_f32 v50, v74, 0x3ed4b147, v56
	v_dual_add_f32 v28, v43, v28 :: v_dual_fmamk_f32 v43, v74, 0x3f575c64, v67
	s_delay_alu instid0(VALU_DEP_4) | instskip(NEXT) | instid1(VALU_DEP_3)
	v_add_f32_e32 v31, v51, v31
	v_dual_sub_f32 v91, v13, v7 :: v_dual_add_f32 v30, v50, v30
	v_dual_mul_f32 v70, 0xbf0a6770, v90 :: v_dual_add_f32 v79, v7, v13
	s_delay_alu instid0(VALU_DEP_2) | instskip(SKIP_2) | instid1(VALU_DEP_3)
	v_dual_add_f32 v83, v43, v42 :: v_dual_mul_f32 v42, 0xbf4178ce, v91
	v_dual_mul_f32 v47, 0x3f7d64f0, v91 :: v_dual_mul_f32 v58, 0x3f7d64f0, v93
	v_dual_sub_f32 v96, v15, v5 :: v_dual_add_f32 v81, v4, v14
	v_fmamk_f32 v50, v78, 0xbf27a4f4, v42
	v_mul_f32_e32 v43, 0xbf4178ce, v93
	s_delay_alu instid0(VALU_DEP_4)
	v_fma_f32 v54, 0xbe11bafb, v79, -v58
	v_mul_f32_e32 v64, 0xbf0a6770, v91
	v_fmamk_f32 v53, v78, 0xbe11bafb, v47
	v_add_f32_e32 v26, v50, v26
	v_fma_f32 v51, 0xbf27a4f4, v79, -v43
	v_add_f32_e32 v29, v54, v29
	v_fmamk_f32 v50, v78, 0x3f575c64, v64
	v_dual_add_f32 v28, v53, v28 :: v_dual_mul_f32 v75, 0xbf0a6770, v93
	s_delay_alu instid0(VALU_DEP_4) | instskip(NEXT) | instid1(VALU_DEP_3)
	v_add_f32_e32 v27, v51, v27
	v_dual_mul_f32 v51, 0xbe903f40, v97 :: v_dual_add_f32 v30, v50, v30
	v_mul_f32_e32 v50, 0xbe903f40, v96
	v_fma_f32 v84, 0x3f575c64, v76, -v70
	v_fma_f32 v85, 0x3f575c64, v79, -v75
	s_delay_alu instid0(VALU_DEP_4)
	v_fma_f32 v54, 0xbf75a155, v82, -v51
	v_mul_f32_e32 v57, 0x3f0a6770, v96
	v_fmamk_f32 v53, v81, 0xbf75a155, v50
	v_mul_f32_e32 v89, 0xbf4178ce, v89
	v_add_f32_e32 v31, v85, v31
	v_add_f32_e32 v54, v54, v27
	v_fmamk_f32 v80, v81, 0x3f575c64, v57
	v_mul_f32_e32 v69, 0x3f0a6770, v97
	v_dual_add_f32 v53, v53, v26 :: v_dual_mul_f32 v94, 0xbe903f40, v25
	s_load_b64 s[10:11], s[0:1], 0x8
	s_delay_alu instid0(VALU_DEP_3) | instskip(NEXT) | instid1(VALU_DEP_3)
	v_add_f32_e32 v26, v80, v28
	v_fma_f32 v87, 0x3f575c64, v82, -v69
	v_mul_f32_e32 v80, 0xbe903f40, v91
	v_fma_f32 v98, 0xbf75a155, v66, -v94
	global_wb scope:SCOPE_SE
	s_wait_kmcnt 0x0
	s_barrier_signal -1
	v_add_f32_e32 v27, v87, v29
	v_add_f32_e32 v29, v84, v77
	v_mul_f32_e32 v84, 0xbe903f40, v93
	v_mul_f32_e32 v77, 0xbf4178ce, v97
	;; [unrolled: 1-line block ×3, first 2 shown]
	s_barrier_wait -1
	global_inv scope:SCOPE_SE
	v_fma_f32 v92, 0xbf75a155, v79, -v84
	v_fmamk_f32 v95, v65, 0xbf75a155, v87
	s_delay_alu instid0(VALU_DEP_2) | instskip(NEXT) | instid1(VALU_DEP_2)
	v_dual_add_f32 v29, v92, v29 :: v_dual_mul_f32 v92, 0xbf4178ce, v90
	v_dual_mul_f32 v90, 0x3f68dda4, v91 :: v_dual_add_f32 v25, v95, v8
	v_mul_f32_e32 v95, 0x3f0a6770, v86
	v_dual_fmamk_f32 v61, v72, 0x3f575c64, v88 :: v_dual_add_f32 v86, v98, v9
	s_delay_alu instid0(VALU_DEP_3) | instskip(SKIP_2) | instid1(VALU_DEP_4)
	v_fmamk_f32 v100, v78, 0x3ed4b147, v90
	v_fmamk_f32 v85, v78, 0xbf75a155, v80
	v_mul_f32_e32 v71, 0xbf4178ce, v96
	v_add_f32_e32 v25, v61, v25
	v_fmamk_f32 v61, v74, 0xbf27a4f4, v89
	v_fma_f32 v98, 0x3f575c64, v73, -v95
	v_mul_f32_e32 v91, 0x3f68dda4, v93
	v_fmamk_f32 v28, v81, 0xbf27a4f4, v71
	v_mul_f32_e32 v93, 0xbf7d64f0, v97
	v_add_f32_e32 v25, v61, v25
	v_add_f32_e32 v61, v98, v86
	v_fma_f32 v98, 0xbf27a4f4, v76, -v92
	v_mul_f32_e32 v86, 0xbf7d64f0, v96
	v_add_f32_e32 v24, v28, v30
	v_fma_f32 v28, 0xbf27a4f4, v82, -v77
	s_delay_alu instid0(VALU_DEP_4)
	v_add_f32_e32 v61, v98, v61
	v_add_f32_e32 v98, v100, v25
	v_fmamk_f32 v100, v81, 0xbe11bafb, v86
	v_dual_add_f32 v30, v85, v83 :: v_dual_mul_f32 v83, 0x3f68dda4, v96
	v_mul_f32_e32 v85, 0x3f68dda4, v97
	v_fma_f32 v96, 0x3ed4b147, v79, -v91
	v_add_f32_e32 v25, v28, v31
	s_delay_alu instid0(VALU_DEP_4) | instskip(NEXT) | instid1(VALU_DEP_4)
	v_dual_add_f32 v28, v100, v98 :: v_dual_fmamk_f32 v99, v81, 0x3ed4b147, v83
	v_fma_f32 v97, 0x3ed4b147, v82, -v85
	s_delay_alu instid0(VALU_DEP_4) | instskip(SKIP_1) | instid1(VALU_DEP_3)
	v_add_f32_e32 v61, v96, v61
	v_fma_f32 v96, 0xbe11bafb, v82, -v93
	v_dual_add_f32 v30, v99, v30 :: v_dual_add_f32 v31, v97, v29
	s_delay_alu instid0(VALU_DEP_2)
	v_add_f32_e32 v29, v96, v61
	v_mul_lo_u16 v61, v59, 11
	s_and_saveexec_b32 s0, vcc_lo
	s_cbranch_execz .LBB0_7
; %bb.6:
	v_dual_mul_f32 v96, 0x3f575c64, v65 :: v_dual_mul_f32 v97, 0x3f575c64, v66
	v_dual_mul_f32 v98, 0x3ed4b147, v65 :: v_dual_mul_f32 v99, 0x3ed4b147, v66
	;; [unrolled: 1-line block ×10, first 2 shown]
	v_add_f32_e32 v66, v94, v66
	v_dual_mul_f32 v94, 0xbf75a155, v76 :: v_dual_sub_f32 v65, v65, v87
	v_dual_mul_f32 v112, 0xbe11bafb, v74 :: v_dual_mul_f32 v113, 0xbe11bafb, v76
	s_delay_alu instid0(VALU_DEP_4)
	v_dual_mul_f32 v114, 0xbf75a155, v74 :: v_dual_add_f32 v73, v95, v73
	v_dual_mul_f32 v115, 0x3ed4b147, v74 :: v_dual_mul_f32 v116, 0x3ed4b147, v76
	v_mul_f32_e32 v95, 0x3f575c64, v76
	v_dual_mul_f32 v117, 0x3f575c64, v74 :: v_dual_add_f32 v66, v66, v9
	v_mul_f32_e32 v74, 0xbf27a4f4, v74
	v_dual_mul_f32 v118, 0xbf27a4f4, v78 :: v_dual_add_f32 v65, v65, v8
	v_sub_f32_e32 v72, v72, v88
	v_dual_mul_f32 v76, 0xbf27a4f4, v76 :: v_dual_sub_f32 v45, v102, v45
	v_add_f32_e32 v48, v48, v103
	v_dual_add_f32 v68, v68, v111 :: v_dual_add_f32 v55, v55, v109
	s_delay_alu instid0(VALU_DEP_4) | instskip(NEXT) | instid1(VALU_DEP_4)
	v_add_f32_e32 v65, v72, v65
	v_dual_mul_f32 v87, 0xbe11bafb, v78 :: v_dual_add_f32 v76, v92, v76
	v_mul_f32_e32 v92, 0x3ed4b147, v79
	v_dual_add_f32 v66, v73, v66 :: v_dual_mul_f32 v73, 0xbf27a4f4, v79
	v_dual_sub_f32 v74, v74, v89 :: v_dual_mul_f32 v89, 0xbe11bafb, v82
	v_mul_f32_e32 v72, 0xbf75a155, v78
	v_mul_f32_e32 v111, 0xbf27a4f4, v82
	v_dual_add_f32 v45, v45, v8 :: v_dual_sub_f32 v62, v110, v62
	s_delay_alu instid0(VALU_DEP_4)
	v_add_f32_e32 v89, v93, v89
	v_dual_add_f32 v91, v91, v92 :: v_dual_add_f32 v66, v76, v66
	v_mul_f32_e32 v76, 0x3f575c64, v78
	v_mul_f32_e32 v78, 0x3ed4b147, v78
	v_dual_add_f32 v40, v40, v101 :: v_dual_mul_f32 v93, 0xbf75a155, v82
	v_dual_mul_f32 v88, 0xbe11bafb, v79 :: v_dual_add_f32 v65, v74, v65
	s_delay_alu instid0(VALU_DEP_3)
	v_sub_f32_e32 v78, v78, v90
	v_dual_mul_f32 v90, 0x3f575c64, v82 :: v_dual_add_f32 v45, v62, v45
	v_dual_add_f32 v48, v48, v9 :: v_dual_add_f32 v63, v63, v116
	v_sub_f32_e32 v62, v117, v67
	v_dual_add_f32 v40, v40, v9 :: v_dual_sub_f32 v39, v106, v39
	v_mul_f32_e32 v92, 0x3f575c64, v79
	v_dual_mul_f32 v79, 0xbf75a155, v79 :: v_dual_add_f32 v66, v91, v66
	v_mul_f32_e32 v103, 0xbf27a4f4, v81
	v_mul_f32_e32 v91, 0xbf75a155, v81
	v_dual_mul_f32 v102, 0x3ed4b147, v81 :: v_dual_add_f32 v55, v55, v40
	v_dual_mul_f32 v82, 0x3ed4b147, v82 :: v_dual_add_f32 v45, v62, v45
	v_mul_f32_e32 v74, 0x3f575c64, v81
	v_mul_f32_e32 v81, 0xbe11bafb, v81
	v_add_f32_e32 v65, v78, v65
	s_delay_alu instid0(VALU_DEP_4) | instskip(SKIP_3) | instid1(VALU_DEP_3)
	v_dual_add_f32 v67, v85, v82 :: v_dual_add_f32 v48, v68, v48
	v_add_f32_e32 v68, v70, v95
	v_dual_add_f32 v36, v36, v99 :: v_dual_add_f32 v23, v23, v97
	v_dual_add_f32 v41, v41, v107 :: v_dual_sub_f32 v34, v98, v34
	v_add_f32_e32 v48, v68, v48
	v_add_f32_e32 v68, v84, v79
	s_delay_alu instid0(VALU_DEP_4) | instskip(SKIP_3) | instid1(VALU_DEP_4)
	v_add_f32_e32 v36, v36, v9
	v_dual_sub_f32 v38, v100, v38 :: v_dual_add_f32 v11, v11, v9
	v_add_f32_e32 v34, v34, v8
	v_dual_sub_f32 v44, v108, v44 :: v_dual_add_f32 v9, v23, v9
	v_add_f32_e32 v36, v41, v36
	v_dual_add_f32 v41, v49, v94 :: v_dual_add_f32 v48, v68, v48
	s_delay_alu instid0(VALU_DEP_4) | instskip(SKIP_2) | instid1(VALU_DEP_4)
	v_add_f32_e32 v34, v39, v34
	v_sub_f32_e32 v39, v114, v46
	v_dual_add_f32 v11, v17, v11 :: v_dual_add_f32 v38, v38, v8
	v_add_f32_e32 v40, v67, v48
	s_delay_alu instid0(VALU_DEP_2) | instskip(NEXT) | instid1(VALU_DEP_3)
	v_dual_sub_f32 v62, v72, v80 :: v_dual_add_f32 v11, v19, v11
	v_add_f32_e32 v38, v44, v38
	v_dual_sub_f32 v44, v115, v56 :: v_dual_sub_f32 v19, v96, v22
	s_delay_alu instid0(VALU_DEP_3) | instskip(NEXT) | instid1(VALU_DEP_2)
	v_add_f32_e32 v11, v13, v11
	v_dual_add_f32 v13, v33, v105 :: v_dual_add_f32 v38, v44, v38
	s_delay_alu instid0(VALU_DEP_2) | instskip(NEXT) | instid1(VALU_DEP_2)
	v_dual_sub_f32 v44, v76, v64 :: v_dual_add_f32 v11, v15, v11
	v_add_f32_e32 v9, v13, v9
	s_delay_alu instid0(VALU_DEP_2) | instskip(SKIP_1) | instid1(VALU_DEP_4)
	v_dual_add_f32 v13, v37, v113 :: v_dual_add_f32 v38, v44, v38
	v_sub_f32_e32 v44, v103, v71
	v_add_f32_e32 v5, v5, v11
	v_dual_sub_f32 v11, v112, v35 :: v_dual_add_f32 v36, v41, v36
	v_add_f32_e32 v41, v58, v88
	v_add_f32_e32 v9, v13, v9
	s_delay_alu instid0(VALU_DEP_4) | instskip(SKIP_1) | instid1(VALU_DEP_2)
	v_add_f32_e32 v5, v7, v5
	v_sub_f32_e32 v7, v118, v42
	v_dual_add_f32 v1, v1, v5 :: v_dual_add_f32 v10, v10, v8
	v_add_f32_e32 v8, v19, v8
	v_add_f32_e32 v34, v39, v34
	v_sub_f32_e32 v39, v87, v47
	s_delay_alu instid0(VALU_DEP_4) | instskip(NEXT) | instid1(VALU_DEP_1)
	v_dual_add_f32 v3, v3, v1 :: v_dual_add_f32 v16, v16, v10
	v_dual_add_f32 v44, v44, v38 :: v_dual_add_f32 v3, v21, v3
	s_delay_alu instid0(VALU_DEP_2) | instskip(NEXT) | instid1(VALU_DEP_1)
	v_add_f32_e32 v16, v18, v16
	v_add_f32_e32 v12, v12, v16
	v_sub_f32_e32 v16, v104, v32
	s_delay_alu instid0(VALU_DEP_2) | instskip(NEXT) | instid1(VALU_DEP_2)
	v_add_f32_e32 v12, v14, v12
	v_add_f32_e32 v8, v16, v8
	s_delay_alu instid0(VALU_DEP_2) | instskip(NEXT) | instid1(VALU_DEP_1)
	v_add_f32_e32 v4, v4, v12
	v_add_f32_e32 v4, v6, v4
	s_delay_alu instid0(VALU_DEP_3) | instskip(SKIP_2) | instid1(VALU_DEP_3)
	v_add_f32_e32 v6, v11, v8
	v_add_f32_e32 v36, v41, v36
	v_dual_add_f32 v41, v69, v90 :: v_dual_add_f32 v48, v62, v45
	v_dual_add_f32 v0, v0, v4 :: v_dual_add_f32 v5, v7, v6
	v_dual_sub_f32 v62, v102, v83 :: v_dual_and_b32 v7, 0xffff, v61
	v_add_f32_e32 v17, v39, v34
	v_add_f32_e32 v12, v43, v73
	;; [unrolled: 1-line block ×4, first 2 shown]
	v_dual_add_f32 v39, v62, v48 :: v_dual_add_f32 v4, v51, v93
	s_delay_alu instid0(VALU_DEP_4) | instskip(SKIP_1) | instid1(VALU_DEP_4)
	v_add_f32_e32 v8, v12, v9
	v_sub_f32_e32 v6, v91, v50
	v_dual_add_f32 v2, v2, v0 :: v_dual_add_f32 v45, v55, v45
	v_dual_add_f32 v55, v77, v111 :: v_dual_sub_f32 v18, v74, v57
	s_delay_alu instid0(VALU_DEP_4) | instskip(NEXT) | instid1(VALU_DEP_4)
	v_dual_add_f32 v1, v4, v8 :: v_dual_sub_f32 v70, v81, v86
	v_add_f32_e32 v0, v6, v5
	s_delay_alu instid0(VALU_DEP_3)
	v_dual_add_f32 v45, v55, v45 :: v_dual_add_f32 v2, v20, v2
	v_lshlrev_b32_e32 v4, 3, v7
	v_dual_add_f32 v10, v41, v36 :: v_dual_add_f32 v9, v18, v17
	v_dual_add_f32 v66, v89, v66 :: v_dual_add_f32 v65, v70, v65
	ds_store_2addr_b64 v4, v[2:3], v[0:1] offset1:1
	ds_store_2addr_b64 v4, v[9:10], v[44:45] offset0:2 offset1:3
	ds_store_2addr_b64 v4, v[39:40], v[65:66] offset0:4 offset1:5
	;; [unrolled: 1-line block ×4, first 2 shown]
	ds_store_b64 v4, v[53:54] offset:80
.LBB0_7:
	s_wait_alu 0xfffe
	s_or_b32 exec_lo, exec_lo, s0
	v_and_b32_e32 v0, 0xff, v59
	s_load_b128 s[4:7], s[2:3], 0x0
	global_wb scope:SCOPE_SE
	s_wait_dscnt 0x0
	s_wait_kmcnt 0x0
	s_barrier_signal -1
	s_barrier_wait -1
	v_mul_lo_u16 v0, 0x75, v0
	global_inv scope:SCOPE_SE
	v_cmp_gt_u16_e64 s0, 0x42, v59
	v_lshrrev_b16 v0, 8, v0
	s_delay_alu instid0(VALU_DEP_1) | instskip(NEXT) | instid1(VALU_DEP_1)
	v_sub_nc_u16 v1, v59, v0
	v_lshrrev_b16 v1, 1, v1
	s_delay_alu instid0(VALU_DEP_1) | instskip(NEXT) | instid1(VALU_DEP_1)
	v_and_b32_e32 v1, 0x7f, v1
	v_add_nc_u16 v0, v1, v0
	s_delay_alu instid0(VALU_DEP_1) | instskip(NEXT) | instid1(VALU_DEP_1)
	v_lshrrev_b16 v20, 3, v0
	v_mul_lo_u16 v0, v20, 11
	s_delay_alu instid0(VALU_DEP_1) | instskip(NEXT) | instid1(VALU_DEP_1)
	v_sub_nc_u16 v0, v59, v0
	v_and_b32_e32 v21, 0xff, v0
	s_delay_alu instid0(VALU_DEP_1)
	v_mad_co_u64_u32 v[4:5], null, v21, 40, s[10:11]
	s_clause 0x2
	global_load_b128 v[12:15], v[4:5], off
	global_load_b128 v[0:3], v[4:5], off offset:16
	global_load_b64 v[55:56], v[4:5], off offset:32
	v_add_nc_u32_e32 v8, 0x400, v60
	v_add_nc_u32_e32 v16, 0xc00, v60
	ds_load_2addr_b64 v[4:7], v60 offset1:110
	ds_load_2addr_b64 v[8:11], v8 offset0:92 offset1:202
	ds_load_2addr_b64 v[16:19], v16 offset0:56 offset1:166
	v_and_b32_e32 v20, 0xffff, v20
	global_wb scope:SCOPE_SE
	s_wait_loadcnt_dscnt 0x0
	s_barrier_signal -1
	s_barrier_wait -1
	global_inv scope:SCOPE_SE
	v_mul_f32_e32 v22, v9, v15
	v_mul_f32_e32 v35, v16, v3
	v_mul_u32_u24_e32 v20, 0x42, v20
	v_dual_mul_f32 v23, v8, v15 :: v_dual_mul_f32 v32, v11, v1
	v_mul_f32_e32 v37, v18, v56
	v_mul_f32_e32 v36, v19, v56
	s_delay_alu instid0(VALU_DEP_4) | instskip(NEXT) | instid1(VALU_DEP_4)
	v_add_lshl_u32 v62, v20, v21, 3
	v_fmac_f32_e32 v23, v9, v14
	v_dual_mul_f32 v21, v6, v13 :: v_dual_mul_f32 v34, v17, v3
	v_mul_f32_e32 v20, v7, v13
	v_mul_f32_e32 v33, v10, v1
	s_delay_alu instid0(VALU_DEP_3)
	v_fmac_f32_e32 v21, v7, v12
	v_fma_f32 v7, v8, v14, -v22
	v_fma_f32 v8, v10, v0, -v32
	;; [unrolled: 1-line block ×3, first 2 shown]
	v_fmac_f32_e32 v35, v17, v2
	v_fma_f32 v10, v18, v55, -v36
	v_fma_f32 v6, v6, v12, -v20
	v_dual_fmac_f32 v33, v11, v0 :: v_dual_add_f32 v18, v5, v23
	v_fmac_f32_e32 v37, v19, v55
	v_add_f32_e32 v16, v7, v9
	s_delay_alu instid0(VALU_DEP_4) | instskip(SKIP_3) | instid1(VALU_DEP_4)
	v_dual_add_f32 v20, v6, v8 :: v_dual_sub_f32 v17, v23, v35
	v_dual_add_f32 v22, v8, v10 :: v_dual_add_f32 v19, v23, v35
	v_sub_f32_e32 v8, v8, v10
	v_dual_add_f32 v11, v4, v7 :: v_dual_add_f32 v32, v21, v33
	v_dual_sub_f32 v7, v7, v9 :: v_dual_add_f32 v10, v20, v10
	s_delay_alu instid0(VALU_DEP_4)
	v_dual_sub_f32 v23, v33, v37 :: v_dual_fmac_f32 v6, -0.5, v22
	v_add_f32_e32 v33, v33, v37
	v_fma_f32 v4, -0.5, v16, v4
	v_fma_f32 v5, -0.5, v19, v5
	v_add_f32_e32 v9, v11, v9
	v_dual_add_f32 v11, v18, v35 :: v_dual_add_f32 v16, v32, v37
	s_delay_alu instid0(VALU_DEP_4) | instskip(NEXT) | instid1(VALU_DEP_4)
	v_fmamk_f32 v18, v17, 0x3f5db3d7, v4
	v_dual_fmac_f32 v4, 0xbf5db3d7, v17 :: v_dual_fmamk_f32 v17, v7, 0xbf5db3d7, v5
	v_fmac_f32_e32 v5, 0x3f5db3d7, v7
	v_fmamk_f32 v7, v23, 0x3f5db3d7, v6
	v_dual_fmac_f32 v6, 0xbf5db3d7, v23 :: v_dual_fmac_f32 v21, -0.5, v33
	v_add_f32_e32 v44, v9, v10
	v_dual_sub_f32 v34, v9, v10 :: v_dual_sub_f32 v35, v11, v16
	s_delay_alu instid0(VALU_DEP_3) | instskip(NEXT) | instid1(VALU_DEP_1)
	v_dual_mul_f32 v20, -0.5, v6 :: v_dual_fmamk_f32 v19, v8, 0xbf5db3d7, v21
	v_dual_fmac_f32 v21, 0x3f5db3d7, v8 :: v_dual_mul_f32 v8, 0x3f5db3d7, v19
	s_delay_alu instid0(VALU_DEP_1) | instskip(NEXT) | instid1(VALU_DEP_3)
	v_dual_mul_f32 v22, 0xbf5db3d7, v7 :: v_dual_mul_f32 v23, -0.5, v21
	v_dual_add_f32 v45, v11, v16 :: v_dual_fmac_f32 v20, 0x3f5db3d7, v21
	s_delay_alu instid0(VALU_DEP_3) | instskip(NEXT) | instid1(VALU_DEP_3)
	v_fmac_f32_e32 v8, 0.5, v7
	v_dual_fmac_f32 v22, 0.5, v19 :: v_dual_fmac_f32 v23, 0xbf5db3d7, v6
	s_delay_alu instid0(VALU_DEP_3) | instskip(NEXT) | instid1(VALU_DEP_2)
	v_add_f32_e32 v32, v4, v20
	v_dual_add_f32 v46, v18, v8 :: v_dual_add_f32 v47, v17, v22
	s_delay_alu instid0(VALU_DEP_3)
	v_dual_add_f32 v33, v5, v23 :: v_dual_sub_f32 v36, v18, v8
	v_dual_sub_f32 v38, v4, v20 :: v_dual_sub_f32 v37, v17, v22
	v_sub_f32_e32 v39, v5, v23
	ds_store_2addr_b64 v62, v[44:45], v[46:47] offset1:11
	ds_store_2addr_b64 v62, v[32:33], v[34:35] offset0:22 offset1:33
	ds_store_2addr_b64 v62, v[36:37], v[38:39] offset0:44 offset1:55
	global_wb scope:SCOPE_SE
	s_wait_dscnt 0x0
	s_barrier_signal -1
	s_barrier_wait -1
	global_inv scope:SCOPE_SE
	s_and_saveexec_b32 s1, s0
	s_cbranch_execz .LBB0_9
; %bb.8:
	v_add_nc_u32_e32 v4, 0x800, v60
	v_add_nc_u32_e32 v5, 0x1000, v60
	ds_load_2addr_b64 v[44:47], v60 offset1:66
	ds_load_2addr_b64 v[32:35], v60 offset0:132 offset1:198
	ds_load_2addr_b64 v[36:39], v4 offset0:8 offset1:74
	;; [unrolled: 1-line block ×4, first 2 shown]
.LBB0_9:
	s_wait_alu 0xfffe
	s_or_b32 exec_lo, exec_lo, s1
	v_add_nc_u32_e32 v4, 0xffffffbe, v59
	s_delay_alu instid0(VALU_DEP_1) | instskip(NEXT) | instid1(VALU_DEP_1)
	v_cndmask_b32_e64 v4, v4, v59, s0
	v_mul_i32_i24_e32 v5, 0x48, v4
	v_mul_hi_i32_i24_e32 v4, 0x48, v4
	s_delay_alu instid0(VALU_DEP_2) | instskip(SKIP_1) | instid1(VALU_DEP_2)
	v_add_co_u32 v40, s1, s10, v5
	s_wait_alu 0xf1ff
	v_add_co_ci_u32_e64 v41, s1, s11, v4, s1
	s_clause 0x4
	global_load_b128 v[8:11], v[40:41], off offset:440
	global_load_b128 v[4:7], v[40:41], off offset:456
	;; [unrolled: 1-line block ×4, first 2 shown]
	global_load_b64 v[57:58], v[40:41], off offset:504
	s_wait_loadcnt_dscnt 0x404
	v_mul_f32_e32 v41, v46, v9
	s_wait_dscnt 0x3
	v_dual_mul_f32 v40, v47, v9 :: v_dual_mul_f32 v43, v32, v11
	s_wait_loadcnt 0x3
	v_dual_mul_f32 v42, v33, v11 :: v_dual_mul_f32 v49, v34, v5
	s_wait_dscnt 0x2
	v_dual_mul_f32 v48, v35, v5 :: v_dual_mul_f32 v51, v36, v7
	s_wait_loadcnt 0x2
	v_dual_mul_f32 v50, v37, v7 :: v_dual_mul_f32 v63, v39, v21
	;; [unrolled: 4-line block ×4, first 2 shown]
	v_dual_mul_f32 v72, v26, v58 :: v_dual_fmac_f32 v41, v47, v8
	v_fma_f32 v40, v46, v8, -v40
	v_fma_f32 v32, v32, v10, -v42
	v_dual_fmac_f32 v43, v33, v10 :: v_dual_fmac_f32 v64, v39, v20
	v_fma_f32 v33, v34, v4, -v48
	v_fma_f32 v34, v36, v6, -v50
	;; [unrolled: 1-line block ×3, first 2 shown]
	v_dual_fmac_f32 v49, v35, v4 :: v_dual_fmac_f32 v66, v29, v22
	v_dual_fmac_f32 v51, v37, v6 :: v_dual_fmac_f32 v68, v31, v16
	v_fma_f32 v35, v38, v20, -v63
	v_fma_f32 v29, v30, v16, -v67
	;; [unrolled: 1-line block ×3, first 2 shown]
	v_fmac_f32_e32 v70, v25, v18
	v_fma_f32 v25, v26, v57, -v71
	v_fmac_f32_e32 v72, v27, v57
	v_dual_add_f32 v26, v44, v32 :: v_dual_sub_f32 v31, v51, v66
	v_dual_sub_f32 v48, v34, v28 :: v_dual_add_f32 v69, v40, v33
	v_dual_add_f32 v27, v34, v28 :: v_dual_sub_f32 v30, v43, v70
	v_dual_sub_f32 v39, v34, v32 :: v_dual_sub_f32 v36, v32, v34
	v_sub_f32_e32 v37, v24, v28
	v_dual_add_f32 v38, v32, v24 :: v_dual_add_f32 v47, v51, v66
	v_dual_sub_f32 v42, v28, v24 :: v_dual_sub_f32 v63, v70, v66
	v_dual_add_f32 v46, v45, v43 :: v_dual_add_f32 v65, v43, v70
	v_dual_sub_f32 v50, v43, v51 :: v_dual_sub_f32 v73, v49, v72
	v_dual_add_f32 v71, v35, v29 :: v_dual_sub_f32 v74, v64, v68
	v_dual_sub_f32 v75, v33, v35 :: v_dual_sub_f32 v78, v35, v33
	v_dual_sub_f32 v76, v25, v29 :: v_dual_add_f32 v81, v64, v68
	v_dual_add_f32 v77, v33, v25 :: v_dual_sub_f32 v84, v72, v68
	v_add_f32_e32 v80, v41, v49
	v_dual_sub_f32 v33, v33, v25 :: v_dual_add_f32 v26, v26, v34
	v_dual_sub_f32 v82, v35, v29 :: v_dual_sub_f32 v83, v49, v64
	v_add_f32_e32 v85, v49, v72
	v_add_f32_e32 v35, v69, v35
	v_sub_f32_e32 v43, v51, v43
	v_dual_sub_f32 v79, v29, v25 :: v_dual_sub_f32 v86, v68, v72
	v_dual_sub_f32 v49, v64, v49 :: v_dual_add_f32 v34, v39, v42
	v_fma_f32 v87, -0.5, v27, v44
	v_dual_add_f32 v27, v36, v37 :: v_dual_add_f32 v36, v46, v51
	v_fmac_f32_e32 v44, -0.5, v38
	v_fma_f32 v46, -0.5, v47, v45
	v_add_f32_e32 v37, v50, v63
	v_fma_f32 v39, -0.5, v71, v40
	v_add_f32_e32 v42, v75, v76
	v_add_f32_e32 v47, v80, v64
	v_fma_f32 v50, -0.5, v81, v41
	v_dual_fmac_f32 v41, -0.5, v85 :: v_dual_add_f32 v26, v26, v28
	v_dual_add_f32 v29, v35, v29 :: v_dual_sub_f32 v32, v32, v24
	v_sub_f32_e32 v67, v66, v70
	v_fmac_f32_e32 v45, -0.5, v65
	v_fmamk_f32 v28, v30, 0x3f737871, v87
	v_dual_fmac_f32 v87, 0xbf737871, v30 :: v_dual_add_f32 v26, v26, v24
	v_dual_fmamk_f32 v63, v31, 0xbf737871, v44 :: v_dual_add_f32 v36, v36, v66
	v_dual_fmamk_f32 v66, v73, 0x3f737871, v39 :: v_dual_add_f32 v35, v47, v68
	;; [unrolled: 1-line block ×4, first 2 shown]
	v_dual_add_f32 v51, v83, v84 :: v_dual_fmac_f32 v44, 0x3f737871, v31
	v_dual_add_f32 v49, v49, v86 :: v_dual_fmamk_f32 v64, v32, 0xbf737871, v46
	v_dual_fmac_f32 v46, 0x3f737871, v32 :: v_dual_fmamk_f32 v65, v48, 0x3f737871, v45
	v_dual_fmac_f32 v45, 0xbf737871, v48 :: v_dual_add_f32 v24, v26, v29
	v_dual_fmac_f32 v47, 0xbf167918, v82 :: v_dual_fmac_f32 v68, 0xbf167918, v33
	v_dual_fmac_f32 v28, 0x3f167918, v31 :: v_dual_fmac_f32 v63, 0x3f167918, v30
	;; [unrolled: 1-line block ×3, first 2 shown]
	s_delay_alu instid0(VALU_DEP_4)
	v_dual_add_f32 v30, v36, v70 :: v_dual_fmac_f32 v45, 0x3f167918, v32
	v_fmac_f32_e32 v66, 0x3f167918, v74
	v_dual_fmac_f32 v47, 0x3e9e377a, v51 :: v_dual_fmac_f32 v68, 0x3e9e377a, v49
	v_dual_fmac_f32 v40, -0.5, v77 :: v_dual_add_f32 v43, v78, v79
	v_fmac_f32_e32 v41, 0xbf737871, v82
	v_dual_fmac_f32 v28, 0x3e9e377a, v27 :: v_dual_fmac_f32 v63, 0x3e9e377a, v34
	v_dual_fmac_f32 v87, 0x3e9e377a, v27 :: v_dual_fmac_f32 v44, 0x3e9e377a, v34
	v_fmac_f32_e32 v66, 0x3e9e377a, v42
	v_dual_sub_f32 v34, v26, v29 :: v_dual_mul_f32 v29, 0x3f167918, v47
	v_dual_fmac_f32 v50, 0x3f737871, v33 :: v_dual_add_f32 v31, v35, v72
	v_fmac_f32_e32 v41, 0x3f167918, v33
	v_fmac_f32_e32 v64, 0xbf167918, v48
	s_delay_alu instid0(VALU_DEP_4)
	v_fmac_f32_e32 v29, 0x3f4f1bbd, v66
	v_fmamk_f32 v67, v74, 0xbf737871, v40
	v_fmac_f32_e32 v40, 0x3f737871, v74
	v_fmac_f32_e32 v65, 0xbf167918, v32
	;; [unrolled: 1-line block ×6, first 2 shown]
	v_dual_fmac_f32 v64, 0x3e9e377a, v37 :: v_dual_fmac_f32 v65, 0x3e9e377a, v38
	s_delay_alu instid0(VALU_DEP_4) | instskip(NEXT) | instid1(VALU_DEP_3)
	v_dual_fmac_f32 v46, 0x3e9e377a, v37 :: v_dual_fmac_f32 v45, 0x3e9e377a, v38
	v_fmac_f32_e32 v40, 0x3e9e377a, v43
	v_sub_f32_e32 v35, v30, v31
	v_fmac_f32_e32 v50, 0x3e9e377a, v51
	v_dual_add_f32 v25, v30, v31 :: v_dual_mul_f32 v30, 0x3f737871, v68
	s_delay_alu instid0(VALU_DEP_4) | instskip(NEXT) | instid1(VALU_DEP_3)
	v_mul_f32_e32 v26, 0x3e9e377a, v40
	v_dual_sub_f32 v36, v28, v29 :: v_dual_mul_f32 v33, 0x3f4f1bbd, v50
	s_delay_alu instid0(VALU_DEP_2) | instskip(SKIP_2) | instid1(VALU_DEP_1)
	v_fma_f32 v37, 0x3f737871, v41, -v26
	v_add_f32_e32 v26, v28, v29
	v_fmac_f32_e32 v67, 0x3f167918, v73
	v_dual_sub_f32 v28, v44, v37 :: v_dual_fmac_f32 v67, 0x3e9e377a, v43
	s_delay_alu instid0(VALU_DEP_1) | instskip(NEXT) | instid1(VALU_DEP_1)
	v_dual_fmac_f32 v39, 0xbf737871, v73 :: v_dual_mul_f32 v48, 0xbf737871, v67
	v_fmac_f32_e32 v39, 0xbf167918, v74
	s_delay_alu instid0(VALU_DEP_1) | instskip(SKIP_2) | instid1(VALU_DEP_3)
	v_dual_fmac_f32 v48, 0x3e9e377a, v68 :: v_dual_fmac_f32 v39, 0x3e9e377a, v42
	v_add_f32_e32 v42, v44, v37
	v_fmac_f32_e32 v30, 0x3e9e377a, v67
	v_mul_f32_e32 v27, 0x3f4f1bbd, v39
	s_delay_alu instid0(VALU_DEP_1) | instskip(SKIP_2) | instid1(VALU_DEP_2)
	v_fma_f32 v49, 0x3f167918, v50, -v27
	v_mul_f32_e32 v31, 0xbf167918, v66
	v_fma_f32 v50, 0xbf167918, v39, -v33
	v_fmac_f32_e32 v31, 0x3f4f1bbd, v47
	v_dual_mul_f32 v32, 0x3e9e377a, v41 :: v_dual_add_f32 v41, v65, v48
	v_sub_f32_e32 v38, v63, v30
	s_delay_alu instid0(VALU_DEP_4) | instskip(NEXT) | instid1(VALU_DEP_4)
	v_add_f32_e32 v33, v46, v50
	v_add_f32_e32 v27, v64, v31
	s_delay_alu instid0(VALU_DEP_4) | instskip(SKIP_3) | instid1(VALU_DEP_4)
	v_fma_f32 v47, 0xbf737871, v40, -v32
	v_add_f32_e32 v40, v63, v30
	v_sub_f32_e32 v30, v87, v49
	v_dual_add_f32 v32, v87, v49 :: v_dual_sub_f32 v37, v64, v31
	v_add_f32_e32 v43, v45, v47
	v_sub_f32_e32 v39, v65, v48
	v_sub_f32_e32 v29, v45, v47
	;; [unrolled: 1-line block ×3, first 2 shown]
	s_and_saveexec_b32 s1, s0
	s_cbranch_execz .LBB0_11
; %bb.10:
	v_add_nc_u32_e32 v44, 0x800, v60
	v_add_nc_u32_e32 v45, 0x1000, v60
	ds_store_2addr_b64 v60, v[24:25], v[26:27] offset1:66
	ds_store_2addr_b64 v60, v[40:41], v[42:43] offset0:132 offset1:198
	ds_store_2addr_b64 v44, v[32:33], v[34:35] offset0:8 offset1:74
	;; [unrolled: 1-line block ×4, first 2 shown]
.LBB0_11:
	s_wait_alu 0xfffe
	s_or_b32 exec_lo, exec_lo, s1
	global_wb scope:SCOPE_SE
	s_wait_dscnt 0x0
	s_barrier_signal -1
	s_barrier_wait -1
	global_inv scope:SCOPE_SE
	s_and_saveexec_b32 s1, vcc_lo
	s_cbranch_execz .LBB0_13
; %bb.12:
	global_load_b64 v[44:45], v60, s[12:13] offset:5280
	s_add_nc_u64 s[2:3], s[12:13], 0x14a0
	s_clause 0x9
	global_load_b64 v[75:76], v60, s[2:3] offset:480
	global_load_b64 v[77:78], v60, s[2:3] offset:960
	;; [unrolled: 1-line block ×10, first 2 shown]
	ds_load_b64 v[46:47], v60
	v_add_nc_u32_e32 v96, 0x800, v60
	s_wait_loadcnt_dscnt 0xa00
	v_dual_mul_f32 v48, v47, v45 :: v_dual_add_nc_u32 v97, 0x1000, v60
	v_mul_f32_e32 v49, v46, v45
	s_delay_alu instid0(VALU_DEP_2) | instskip(NEXT) | instid1(VALU_DEP_2)
	v_fma_f32 v48, v46, v44, -v48
	v_fmac_f32_e32 v49, v47, v44
	ds_store_b64 v60, v[48:49]
	ds_load_2addr_b64 v[44:47], v60 offset0:60 offset1:120
	ds_load_2addr_b64 v[48:51], v60 offset0:180 offset1:240
	;; [unrolled: 1-line block ×5, first 2 shown]
	s_wait_loadcnt_dscnt 0x603
	v_dual_mul_f32 v100, v49, v80 :: v_dual_mul_f32 v101, v51, v82
	v_dual_mul_f32 v98, v45, v76 :: v_dual_mul_f32 v99, v47, v78
	;; [unrolled: 1-line block ×3, first 2 shown]
	s_wait_loadcnt_dscnt 0x402
	v_dual_mul_f32 v78, v48, v80 :: v_dual_mul_f32 v103, v66, v86
	v_mul_f32_e32 v80, v50, v82
	s_wait_loadcnt_dscnt 0x201
	v_dual_mul_f32 v102, v64, v84 :: v_dual_mul_f32 v105, v70, v90
	s_wait_loadcnt_dscnt 0x0
	v_dual_mul_f32 v82, v63, v84 :: v_dual_mul_f32 v107, v74, v94
	v_mul_f32_e32 v84, v65, v86
	v_dual_mul_f32 v104, v68, v88 :: v_dual_fmac_f32 v95, v45, v75
	v_mul_f32_e32 v86, v67, v88
	v_mul_f32_e32 v88, v69, v90
	;; [unrolled: 1-line block ×5, first 2 shown]
	v_fma_f32 v94, v44, v75, -v98
	v_fma_f32 v75, v46, v77, -v99
	v_fmac_f32_e32 v76, v47, v77
	v_fma_f32 v77, v48, v79, -v100
	v_fmac_f32_e32 v78, v49, v79
	;; [unrolled: 2-line block ×9, first 2 shown]
	ds_store_2addr_b64 v60, v[94:95], v[75:76] offset0:60 offset1:120
	ds_store_2addr_b64 v60, v[77:78], v[79:80] offset0:180 offset1:240
	;; [unrolled: 1-line block ×5, first 2 shown]
.LBB0_13:
	s_wait_alu 0xfffe
	s_or_b32 exec_lo, exec_lo, s1
	global_wb scope:SCOPE_SE
	s_wait_dscnt 0x0
	s_barrier_signal -1
	s_barrier_wait -1
	global_inv scope:SCOPE_SE
	s_and_saveexec_b32 s1, vcc_lo
	s_cbranch_execz .LBB0_15
; %bb.14:
	v_add_nc_u32_e32 v28, 0x400, v60
	v_add_nc_u32_e32 v29, 0x800, v60
	;; [unrolled: 1-line block ×3, first 2 shown]
	ds_load_2addr_b64 v[24:27], v60 offset1:60
	ds_load_2addr_b64 v[40:43], v60 offset0:120 offset1:180
	ds_load_2addr_b64 v[32:35], v28 offset0:112 offset1:172
	ds_load_2addr_b64 v[36:39], v29 offset0:104 offset1:164
	ds_load_2addr_b64 v[28:31], v30 offset0:96 offset1:156
	ds_load_b64 v[53:54], v60 offset:4800
.LBB0_15:
	s_wait_alu 0xfffe
	s_or_b32 exec_lo, exec_lo, s1
	s_wait_dscnt 0x0
	v_dual_sub_f32 v67, v27, v54 :: v_dual_sub_f32 v64, v26, v53
	v_add_f32_e32 v63, v53, v26
	v_add_f32_e32 v85, v29, v43
	v_dual_sub_f32 v75, v43, v29 :: v_dual_sub_f32 v82, v33, v39
	s_delay_alu instid0(VALU_DEP_4) | instskip(SKIP_3) | instid1(VALU_DEP_4)
	v_mul_f32_e32 v73, 0xbf68dda4, v67
	v_mul_f32_e32 v88, 0xbf4178ce, v67
	v_dual_mul_f32 v81, 0xbf7d64f0, v67 :: v_dual_add_f32 v76, v31, v41
	v_mul_f32_e32 v91, 0xbf75a155, v85
	v_fma_f32 v44, 0x3ed4b147, v63, -v73
	v_add_f32_e32 v71, v54, v27
	v_mul_f32_e32 v96, 0x3f68dda4, v75
	v_dual_mul_f32 v83, 0xbf27a4f4, v76 :: v_dual_sub_f32 v66, v40, v30
	s_delay_alu instid0(VALU_DEP_4) | instskip(NEXT) | instid1(VALU_DEP_4)
	v_add_f32_e32 v44, v24, v44
	v_mul_f32_e32 v84, 0xbe11bafb, v71
	v_fma_f32 v48, 0xbf27a4f4, v63, -v88
	v_mul_f32_e32 v77, 0x3ed4b147, v71
	v_mul_f32_e32 v93, 0xbf27a4f4, v71
	v_fma_f32 v46, 0xbe11bafb, v63, -v81
	v_sub_f32_e32 v70, v41, v31
	v_add_f32_e32 v48, v24, v48
	v_fmamk_f32 v45, v64, 0xbf68dda4, v77
	s_delay_alu instid0(VALU_DEP_4) | instskip(SKIP_2) | instid1(VALU_DEP_4)
	v_dual_fmamk_f32 v69, v66, 0xbf4178ce, v83 :: v_dual_add_f32 v46, v24, v46
	v_add_f32_e32 v65, v30, v40
	v_dual_fmamk_f32 v49, v64, 0xbf4178ce, v93 :: v_dual_mul_f32 v80, 0xbf4178ce, v70
	v_dual_add_f32 v45, v25, v45 :: v_dual_mul_f32 v94, 0xbf75a155, v76
	v_mul_f32_e32 v97, 0x3f7d64f0, v70
	s_delay_alu instid0(VALU_DEP_3) | instskip(NEXT) | instid1(VALU_DEP_3)
	v_dual_mul_f32 v98, 0xbe903f40, v67 :: v_dual_add_f32 v49, v25, v49
	v_add_f32_e32 v45, v69, v45
	v_mul_f32_e32 v87, 0x3e903f40, v70
	v_dual_mul_f32 v111, 0x3f575c64, v76 :: v_dual_mul_f32 v110, 0x3f575c64, v85
	s_delay_alu instid0(VALU_DEP_4) | instskip(SKIP_1) | instid1(VALU_DEP_4)
	v_fma_f32 v50, 0xbf75a155, v63, -v98
	v_mul_f32_e32 v103, 0xbf0a6770, v75
	v_fma_f32 v72, 0xbf75a155, v65, -v87
	global_wb scope:SCOPE_SE
	s_barrier_signal -1
	s_barrier_wait -1
	v_add_f32_e32 v50, v24, v50
	v_add_f32_e32 v46, v72, v46
	v_fma_f32 v68, 0xbf27a4f4, v65, -v80
	v_fma_f32 v69, 0xbe11bafb, v65, -v97
	v_fmamk_f32 v47, v64, 0xbf7d64f0, v84
	v_mul_f32_e32 v105, 0xbf75a155, v71
	global_inv scope:SCOPE_SE
	v_add_f32_e32 v44, v68, v44
	v_fmamk_f32 v68, v66, 0x3e903f40, v94
	v_dual_mul_f32 v107, 0x3f0a6770, v70 :: v_dual_add_f32 v48, v69, v48
	v_dual_add_f32 v47, v25, v47 :: v_dual_mul_f32 v102, 0xbe11bafb, v76
	v_mul_f32_e32 v86, 0x3e903f40, v75
	v_mul_f32_e32 v114, 0xbf4178ce, v75
	s_delay_alu instid0(VALU_DEP_3) | instskip(SKIP_3) | instid1(VALU_DEP_4)
	v_dual_add_f32 v92, v39, v33 :: v_dual_add_f32 v47, v68, v47
	v_fma_f32 v68, 0x3f575c64, v65, -v107
	v_fmamk_f32 v72, v66, 0x3f7d64f0, v102
	v_mul_f32_e32 v104, 0xbf0a6770, v82
	v_mul_f32_e32 v100, 0xbe11bafb, v92
	s_delay_alu instid0(VALU_DEP_4)
	v_dual_mul_f32 v115, 0xbf75a155, v92 :: v_dual_add_f32 v50, v68, v50
	v_add_f32_e32 v68, v28, v42
	v_add_f32_e32 v49, v72, v49
	v_mul_f32_e32 v109, 0x3f575c64, v92
	v_mul_f32_e32 v120, 0x3ed4b147, v92
	;; [unrolled: 1-line block ×3, first 2 shown]
	v_fma_f32 v78, 0x3ed4b147, v68, -v96
	v_fmamk_f32 v51, v64, 0xbe903f40, v105
	v_fma_f32 v72, 0xbf75a155, v68, -v86
	s_delay_alu instid0(VALU_DEP_2) | instskip(NEXT) | instid1(VALU_DEP_2)
	v_dual_add_f32 v46, v78, v46 :: v_dual_add_f32 v51, v25, v51
	v_add_f32_e32 v44, v72, v44
	v_fma_f32 v72, 0x3f575c64, v68, -v103
	v_fmamk_f32 v69, v66, 0x3f0a6770, v111
	v_fma_f32 v78, 0xbf27a4f4, v68, -v114
	s_delay_alu instid0(VALU_DEP_2) | instskip(SKIP_1) | instid1(VALU_DEP_3)
	v_dual_add_f32 v48, v72, v48 :: v_dual_add_f32 v51, v69, v51
	v_sub_f32_e32 v69, v42, v28
	v_add_f32_e32 v50, v78, v50
	v_dual_add_f32 v72, v38, v32 :: v_dual_mul_f32 v99, 0x3ed4b147, v85
	v_mul_f32_e32 v117, 0xbf27a4f4, v85
	s_delay_alu instid0(VALU_DEP_4) | instskip(NEXT) | instid1(VALU_DEP_1)
	v_fmamk_f32 v74, v69, 0x3e903f40, v91
	v_dual_add_f32 v45, v74, v45 :: v_dual_fmamk_f32 v74, v69, 0xbf0a6770, v110
	s_delay_alu instid0(VALU_DEP_1) | instskip(SKIP_2) | instid1(VALU_DEP_3)
	v_dual_add_f32 v49, v74, v49 :: v_dual_sub_f32 v74, v32, v38
	v_mul_f32_e32 v95, 0x3f7d64f0, v82
	v_fmamk_f32 v79, v69, 0x3f68dda4, v99
	v_fmamk_f32 v78, v74, 0x3f7d64f0, v100
	s_delay_alu instid0(VALU_DEP_3) | instskip(NEXT) | instid1(VALU_DEP_3)
	v_fma_f32 v89, 0xbe11bafb, v72, -v95
	v_add_f32_e32 v47, v79, v47
	s_delay_alu instid0(VALU_DEP_3) | instskip(SKIP_1) | instid1(VALU_DEP_4)
	v_dual_add_f32 v45, v78, v45 :: v_dual_add_f32 v78, v36, v34
	v_dual_mul_f32 v112, 0xbe903f40, v82 :: v_dual_fmamk_f32 v101, v74, 0xbe903f40, v115
	v_add_f32_e32 v44, v89, v44
	s_delay_alu instid0(VALU_DEP_2) | instskip(NEXT) | instid1(VALU_DEP_1)
	v_fma_f32 v90, 0xbf75a155, v72, -v112
	v_dual_fmamk_f32 v79, v69, 0xbf4178ce, v117 :: v_dual_add_f32 v48, v90, v48
	s_delay_alu instid0(VALU_DEP_1) | instskip(SKIP_2) | instid1(VALU_DEP_2)
	v_add_f32_e32 v51, v79, v51
	v_fma_f32 v79, 0x3f575c64, v72, -v104
	v_dual_add_f32 v90, v37, v35 :: v_dual_fmamk_f32 v89, v74, 0xbf0a6770, v109
	v_add_f32_e32 v116, v79, v46
	v_fma_f32 v46, 0x3ed4b147, v72, -v118
	s_delay_alu instid0(VALU_DEP_3) | instskip(SKIP_1) | instid1(VALU_DEP_3)
	v_dual_add_f32 v123, v89, v47 :: v_dual_mul_f32 v106, 0x3f575c64, v90
	v_sub_f32_e32 v89, v35, v37
	v_dual_add_f32 v49, v101, v49 :: v_dual_add_f32 v124, v46, v50
	v_sub_f32_e32 v79, v34, v36
	v_fmamk_f32 v47, v74, 0x3f68dda4, v120
	s_delay_alu instid0(VALU_DEP_4) | instskip(SKIP_2) | instid1(VALU_DEP_3)
	v_mul_f32_e32 v101, 0x3f0a6770, v89
	v_mul_f32_e32 v108, 0xbf4178ce, v89
	;; [unrolled: 1-line block ×3, first 2 shown]
	v_fma_f32 v113, 0x3f575c64, v78, -v101
	s_delay_alu instid0(VALU_DEP_3) | instskip(NEXT) | instid1(VALU_DEP_2)
	v_fma_f32 v50, 0xbf27a4f4, v78, -v108
	v_dual_fmamk_f32 v127, v79, 0xbf7d64f0, v122 :: v_dual_add_f32 v46, v113, v44
	s_delay_alu instid0(VALU_DEP_2) | instskip(SKIP_4) | instid1(VALU_DEP_4)
	v_add_f32_e32 v44, v50, v116
	v_mul_f32_e32 v116, 0x3f68dda4, v89
	v_mul_f32_e32 v121, 0xbf7d64f0, v89
	v_add_f32_e32 v125, v47, v51
	v_mul_f32_e32 v113, 0xbf27a4f4, v90
	v_fma_f32 v50, 0x3ed4b147, v78, -v116
	s_delay_alu instid0(VALU_DEP_4) | instskip(NEXT) | instid1(VALU_DEP_2)
	v_fma_f32 v126, 0xbe11bafb, v78, -v121
	v_dual_fmamk_f32 v119, v79, 0x3f0a6770, v106 :: v_dual_add_f32 v50, v50, v48
	s_delay_alu instid0(VALU_DEP_1) | instskip(SKIP_2) | instid1(VALU_DEP_2)
	v_dual_add_f32 v48, v126, v124 :: v_dual_add_f32 v47, v119, v45
	v_mul_f32_e32 v119, 0x3ed4b147, v90
	v_fmamk_f32 v45, v79, 0xbf4178ce, v113
	v_fmamk_f32 v51, v79, 0x3f68dda4, v119
	s_delay_alu instid0(VALU_DEP_2) | instskip(NEXT) | instid1(VALU_DEP_2)
	v_add_f32_e32 v45, v45, v123
	v_add_f32_e32 v51, v51, v49
	v_add_f32_e32 v49, v127, v125
	s_and_saveexec_b32 s1, vcc_lo
	s_cbranch_execz .LBB0_17
; %bb.16:
	v_dual_mul_f32 v138, 0x3f0a6770, v66 :: v_dual_mul_f32 v155, 0x3f0a6770, v79
	v_mul_f32_e32 v128, 0xbf4178ce, v64
	v_mul_f32_e32 v129, 0xbf75a155, v63
	s_delay_alu instid0(VALU_DEP_3) | instskip(SKIP_2) | instid1(VALU_DEP_4)
	v_dual_mul_f32 v146, 0xbf4178ce, v69 :: v_dual_sub_f32 v111, v111, v138
	v_mul_f32_e32 v130, 0xbe903f40, v64
	v_mul_f32_e32 v124, 0xbf68dda4, v64
	v_dual_mul_f32 v125, 0xbe11bafb, v63 :: v_dual_add_f32 v98, v129, v98
	v_dual_mul_f32 v137, 0x3f575c64, v65 :: v_dual_mul_f32 v154, 0x3f575c64, v78
	s_delay_alu instid0(VALU_DEP_4) | instskip(SKIP_1) | instid1(VALU_DEP_3)
	v_dual_sub_f32 v105, v105, v130 :: v_dual_mul_f32 v126, 0xbf7d64f0, v64
	v_mul_f32_e32 v140, 0x3e903f40, v69
	v_dual_mul_f32 v132, 0xbf4178ce, v66 :: v_dual_add_f32 v107, v137, v107
	s_delay_alu instid0(VALU_DEP_3) | instskip(SKIP_3) | instid1(VALU_DEP_4)
	v_add_f32_e32 v105, v25, v105
	v_dual_mul_f32 v142, 0x3f68dda4, v69 :: v_dual_mul_f32 v153, 0x3f68dda4, v74
	v_mul_f32_e32 v136, 0x3f7d64f0, v66
	v_dual_mul_f32 v144, 0xbf0a6770, v69 :: v_dual_sub_f32 v93, v93, v128
	v_add_f32_e32 v105, v111, v105
	v_sub_f32_e32 v111, v117, v146
	v_mul_f32_e32 v134, 0x3e903f40, v66
	v_dual_add_f32 v98, v24, v98 :: v_dual_mul_f32 v123, 0x3ed4b147, v63
	s_delay_alu instid0(VALU_DEP_3) | instskip(NEXT) | instid1(VALU_DEP_3)
	v_dual_mul_f32 v130, 0x3ed4b147, v72 :: v_dual_add_f32 v105, v111, v105
	v_dual_mul_f32 v145, 0xbf27a4f4, v68 :: v_dual_sub_f32 v94, v94, v134
	v_dual_mul_f32 v127, 0xbf27a4f4, v63 :: v_dual_mul_f32 v138, 0xbf27a4f4, v78
	s_delay_alu instid0(VALU_DEP_4)
	v_dual_mul_f32 v131, 0xbf27a4f4, v65 :: v_dual_add_f32 v98, v107, v98
	v_dual_mul_f32 v152, 0xbe903f40, v74 :: v_dual_add_f32 v93, v25, v93
	v_sub_f32_e32 v111, v120, v153
	v_dual_mul_f32 v133, 0xbf75a155, v65 :: v_dual_sub_f32 v102, v102, v136
	v_dual_mul_f32 v120, 0xbf7d64f0, v79 :: v_dual_add_f32 v107, v145, v114
	v_dual_mul_f32 v135, 0xbe11bafb, v65 :: v_dual_add_f32 v114, v130, v118
	v_dual_mul_f32 v143, 0x3f575c64, v68 :: v_dual_sub_f32 v84, v84, v126
	v_dual_mul_f32 v148, 0x3f7d64f0, v74 :: v_dual_add_f32 v105, v111, v105
	s_delay_alu instid0(VALU_DEP_4)
	v_dual_mul_f32 v156, 0xbf4178ce, v79 :: v_dual_add_f32 v107, v107, v98
	v_dual_mul_f32 v157, 0x3ed4b147, v78 :: v_dual_add_f32 v88, v127, v88
	v_mul_f32_e32 v117, 0x3f68dda4, v79
	v_mul_f32_e32 v129, 0xbe11bafb, v78
	v_dual_add_f32 v93, v102, v93 :: v_dual_mul_f32 v150, 0xbf0a6770, v74
	v_sub_f32_e32 v111, v122, v120
	v_dual_sub_f32 v102, v110, v144 :: v_dual_add_f32 v73, v123, v73
	v_mul_f32_e32 v139, 0xbf75a155, v68
	v_dual_mul_f32 v141, 0x3ed4b147, v68 :: v_dual_add_f32 v110, v135, v97
	s_delay_alu instid0(VALU_DEP_4)
	v_dual_add_f32 v98, v111, v105 :: v_dual_add_f32 v105, v114, v107
	v_dual_add_f32 v88, v24, v88 :: v_dual_add_f32 v107, v129, v121
	;; [unrolled: 1-line block ×4, first 2 shown]
	v_sub_f32_e32 v77, v77, v124
	v_add_f32_e32 v73, v24, v73
	v_mul_f32_e32 v149, 0x3f575c64, v72
	v_sub_f32_e32 v102, v115, v152
	v_dual_add_f32 v88, v110, v88 :: v_dual_add_f32 v97, v107, v105
	v_add_f32_e32 v84, v94, v84
	v_sub_f32_e32 v94, v99, v142
	v_add_f32_e32 v103, v143, v103
	v_sub_f32_e32 v83, v83, v132
	v_dual_add_f32 v73, v80, v73 :: v_dual_add_f32 v80, v139, v86
	v_add_f32_e32 v77, v25, v77
	v_add_f32_e32 v27, v27, v25
	v_mul_f32_e32 v147, 0xbe11bafb, v72
	v_add_f32_e32 v84, v94, v84
	v_dual_add_f32 v93, v102, v93 :: v_dual_add_f32 v88, v103, v88
	v_sub_f32_e32 v102, v119, v117
	v_add_f32_e32 v105, v125, v81
	v_dual_add_f32 v83, v83, v77 :: v_dual_mul_f32 v70, 0xbf68dda4, v70
	v_sub_f32_e32 v91, v91, v140
	v_add_f32_e32 v27, v41, v27
	v_dual_mul_f32 v151, 0xbf75a155, v72 :: v_dual_sub_f32 v94, v109, v150
	v_add_f32_e32 v81, v102, v93
	v_add_f32_e32 v93, v24, v105
	v_dual_add_f32 v83, v91, v83 :: v_dual_add_f32 v26, v26, v24
	v_mul_f32_e32 v91, 0x3f575c64, v71
	v_add_f32_e32 v27, v43, v27
	v_add_f32_e32 v99, v157, v116
	;; [unrolled: 1-line block ×3, first 2 shown]
	v_sub_f32_e32 v94, v113, v156
	v_dual_fmamk_f32 v86, v64, 0x3f0a6770, v91 :: v_dual_add_f32 v87, v87, v93
	v_add_f32_e32 v93, v141, v96
	v_add_f32_e32 v27, v33, v27
	s_delay_alu instid0(VALU_DEP_4) | instskip(NEXT) | instid1(VALU_DEP_4)
	v_dual_add_f32 v77, v94, v84 :: v_dual_add_f32 v26, v40, v26
	v_dual_add_f32 v71, v138, v108 :: v_dual_add_f32 v86, v25, v86
	s_delay_alu instid0(VALU_DEP_3)
	v_add_f32_e32 v27, v35, v27
	v_mul_f32_e32 v35, 0xbe903f40, v89
	v_dual_add_f32 v73, v80, v73 :: v_dual_add_f32 v80, v147, v95
	v_add_f32_e32 v87, v93, v87
	v_add_f32_e32 v93, v149, v104
	v_dual_add_f32 v103, v151, v112 :: v_dual_add_f32 v26, v42, v26
	v_mul_f32_e32 v67, 0xbf0a6770, v67
	v_mul_f32_e32 v42, 0xbf75a155, v90
	s_delay_alu instid0(VALU_DEP_4) | instskip(NEXT) | instid1(VALU_DEP_4)
	v_add_f32_e32 v84, v93, v87
	v_add_f32_e32 v88, v103, v88
	v_sub_f32_e32 v87, v100, v148
	v_mul_f32_e32 v33, 0xbf4178ce, v82
	v_dual_sub_f32 v93, v106, v155 :: v_dual_add_f32 v26, v32, v26
	v_mul_f32_e32 v75, 0xbf7d64f0, v75
	s_delay_alu instid0(VALU_DEP_3) | instskip(NEXT) | instid1(VALU_DEP_3)
	v_dual_add_f32 v83, v87, v83 :: v_dual_fmamk_f32 v32, v72, 0xbf27a4f4, v33
	v_dual_mul_f32 v87, 0x3ed4b147, v76 :: v_dual_add_f32 v26, v34, v26
	v_dual_mul_f32 v85, 0xbe11bafb, v85 :: v_dual_add_f32 v76, v71, v84
	v_fmamk_f32 v34, v78, 0xbf75a155, v35
	s_delay_alu instid0(VALU_DEP_3) | instskip(NEXT) | instid1(VALU_DEP_4)
	v_fmamk_f32 v94, v66, 0x3f68dda4, v87
	v_dual_add_f32 v36, v36, v26 :: v_dual_add_f32 v71, v93, v83
	v_add_f32_e32 v73, v80, v73
	s_delay_alu instid0(VALU_DEP_3) | instskip(SKIP_2) | instid1(VALU_DEP_3)
	v_dual_fmamk_f32 v83, v69, 0x3f7d64f0, v85 :: v_dual_add_f32 v80, v94, v86
	v_fmamk_f32 v43, v68, 0xbe11bafb, v75
	v_dual_mul_f32 v86, 0xbf27a4f4, v92 :: v_dual_add_f32 v37, v37, v27
	v_dual_fmac_f32 v85, 0xbf7d64f0, v69 :: v_dual_add_f32 v80, v83, v80
	v_fmamk_f32 v83, v63, 0x3f575c64, v67
	s_delay_alu instid0(VALU_DEP_3) | instskip(SKIP_1) | instid1(VALU_DEP_3)
	v_dual_fmamk_f32 v92, v74, 0x3f4178ce, v86 :: v_dual_add_f32 v37, v39, v37
	v_fmac_f32_e32 v86, 0xbf4178ce, v74
	v_dual_add_f32 v84, v154, v101 :: v_dual_add_f32 v41, v24, v83
	s_delay_alu instid0(VALU_DEP_3) | instskip(SKIP_2) | instid1(VALU_DEP_3)
	v_dual_fmamk_f32 v83, v65, 0x3ed4b147, v70 :: v_dual_add_f32 v40, v92, v80
	v_fmac_f32_e32 v91, 0xbf0a6770, v64
	v_dual_add_f32 v29, v29, v37 :: v_dual_add_f32 v80, v99, v88
	v_add_f32_e32 v41, v83, v41
	s_delay_alu instid0(VALU_DEP_3) | instskip(NEXT) | instid1(VALU_DEP_3)
	v_add_f32_e32 v25, v25, v91
	v_add_f32_e32 v29, v31, v29
	s_delay_alu instid0(VALU_DEP_3) | instskip(SKIP_2) | instid1(VALU_DEP_3)
	v_add_f32_e32 v41, v43, v41
	v_fmamk_f32 v43, v79, 0x3e903f40, v42
	v_fmac_f32_e32 v42, 0xbe903f40, v79
	v_dual_add_f32 v32, v32, v41 :: v_dual_fmac_f32 v87, 0xbf68dda4, v66
	s_delay_alu instid0(VALU_DEP_3) | instskip(NEXT) | instid1(VALU_DEP_2)
	v_add_f32_e32 v27, v43, v40
	v_add_f32_e32 v26, v34, v32
	s_delay_alu instid0(VALU_DEP_3) | instskip(NEXT) | instid1(VALU_DEP_1)
	v_dual_add_f32 v34, v38, v36 :: v_dual_add_f32 v31, v87, v25
	v_dual_add_f32 v25, v54, v29 :: v_dual_add_f32 v28, v28, v34
	v_fma_f32 v32, 0x3f575c64, v63, -v67
	s_delay_alu instid0(VALU_DEP_3) | instskip(SKIP_1) | instid1(VALU_DEP_4)
	v_add_f32_e32 v29, v85, v31
	v_fma_f32 v31, 0xbf27a4f4, v72, -v33
	v_add_f32_e32 v28, v30, v28
	s_delay_alu instid0(VALU_DEP_4) | instskip(SKIP_3) | instid1(VALU_DEP_3)
	v_add_f32_e32 v24, v24, v32
	v_fma_f32 v32, 0x3ed4b147, v65, -v70
	v_add_f32_e32 v29, v86, v29
	v_add_f32_e32 v70, v84, v73
	;; [unrolled: 1-line block ×3, first 2 shown]
	v_fma_f32 v32, 0xbe11bafb, v68, -v75
	s_delay_alu instid0(VALU_DEP_1) | instskip(SKIP_2) | instid1(VALU_DEP_3)
	v_dual_add_f32 v29, v42, v29 :: v_dual_add_f32 v30, v32, v24
	v_add_f32_e32 v24, v53, v28
	v_and_b32_e32 v28, 0xffff, v61
	v_add_f32_e32 v30, v31, v30
	v_fma_f32 v31, 0xbf75a155, v78, -v35
	s_delay_alu instid0(VALU_DEP_3) | instskip(NEXT) | instid1(VALU_DEP_2)
	v_lshlrev_b32_e32 v32, 3, v28
	v_add_f32_e32 v28, v31, v30
	ds_store_2addr_b64 v32, v[24:25], v[26:27] offset1:1
	ds_store_2addr_b64 v32, v[70:71], v[76:77] offset0:2 offset1:3
	ds_store_2addr_b64 v32, v[80:81], v[97:98] offset0:4 offset1:5
	;; [unrolled: 1-line block ×4, first 2 shown]
	ds_store_b64 v32, v[28:29] offset:80
.LBB0_17:
	s_wait_alu 0xfffe
	s_or_b32 exec_lo, exec_lo, s1
	global_wb scope:SCOPE_SE
	s_wait_dscnt 0x0
	s_barrier_signal -1
	s_barrier_wait -1
	global_inv scope:SCOPE_SE
	ds_load_2addr_b64 v[24:27], v60 offset1:110
	v_add_nc_u32_e32 v28, 0x400, v60
	v_add_nc_u32_e32 v32, 0xc00, v60
	s_wait_dscnt 0x0
	v_mul_f32_e32 v36, v13, v27
	v_mul_f32_e32 v13, v13, v26
	ds_load_2addr_b64 v[28:31], v28 offset0:92 offset1:202
	ds_load_2addr_b64 v[32:35], v32 offset0:56 offset1:166
	global_wb scope:SCOPE_SE
	s_wait_dscnt 0x0
	s_barrier_signal -1
	v_fmac_f32_e32 v36, v12, v26
	v_fma_f32 v12, v12, v27, -v13
	s_barrier_wait -1
	global_inv scope:SCOPE_SE
	v_mul_f32_e32 v13, v15, v29
	v_mul_f32_e32 v27, v3, v33
	v_dual_mul_f32 v15, v15, v28 :: v_dual_mul_f32 v26, v1, v31
	v_dual_mul_f32 v3, v3, v32 :: v_dual_mul_f32 v38, v56, v34
	s_delay_alu instid0(VALU_DEP_4) | instskip(NEXT) | instid1(VALU_DEP_3)
	v_fmac_f32_e32 v13, v14, v28
	v_fma_f32 v14, v14, v29, -v15
	v_mul_f32_e32 v37, v56, v35
	v_dual_fmac_f32 v26, v0, v30 :: v_dual_fmac_f32 v27, v2, v32
	s_delay_alu instid0(VALU_DEP_2) | instskip(NEXT) | instid1(VALU_DEP_1)
	v_fmac_f32_e32 v37, v55, v34
	v_dual_mul_f32 v1, v1, v30 :: v_dual_add_f32 v30, v26, v37
	s_delay_alu instid0(VALU_DEP_1) | instskip(SKIP_2) | instid1(VALU_DEP_2)
	v_fma_f32 v0, v0, v31, -v1
	v_fma_f32 v1, v2, v33, -v3
	v_fma_f32 v2, v55, v35, -v38
	v_dual_add_f32 v15, v13, v27 :: v_dual_sub_f32 v28, v14, v1
	s_delay_alu instid0(VALU_DEP_2)
	v_add_f32_e32 v32, v0, v2
	v_add_f32_e32 v3, v24, v13
	v_sub_f32_e32 v13, v13, v27
	v_add_f32_e32 v31, v12, v0
	v_fma_f32 v15, -0.5, v15, v24
	v_dual_fmac_f32 v12, -0.5, v32 :: v_dual_add_f32 v29, v25, v14
	v_add_f32_e32 v24, v3, v27
	v_dual_add_f32 v14, v14, v1 :: v_dual_add_f32 v3, v36, v26
	v_fmac_f32_e32 v36, -0.5, v30
	v_sub_f32_e32 v0, v0, v2
	s_delay_alu instid0(VALU_DEP_3)
	v_fma_f32 v27, -0.5, v14, v25
	v_add_f32_e32 v25, v29, v1
	v_sub_f32_e32 v1, v26, v37
	v_fmamk_f32 v29, v28, 0xbf5db3d7, v15
	v_fmac_f32_e32 v15, 0x3f5db3d7, v28
	v_fmamk_f32 v28, v13, 0x3f5db3d7, v27
	v_fmac_f32_e32 v27, 0xbf5db3d7, v13
	;; [unrolled: 2-line block ×4, first 2 shown]
	s_delay_alu instid0(VALU_DEP_4) | instskip(SKIP_2) | instid1(VALU_DEP_2)
	v_mul_f32_e32 v26, 0xbf5db3d7, v13
	v_add_f32_e32 v14, v3, v37
	v_mul_f32_e32 v30, 0xbf5db3d7, v12
	v_add_f32_e32 v0, v24, v14
	v_dual_mul_f32 v32, 0.5, v13 :: v_dual_mul_f32 v33, -0.5, v12
	v_dual_add_f32 v31, v31, v2 :: v_dual_fmac_f32 v26, 0.5, v1
	s_delay_alu instid0(VALU_DEP_4) | instskip(NEXT) | instid1(VALU_DEP_3)
	v_fmac_f32_e32 v30, -0.5, v36
	v_dual_fmac_f32 v32, 0x3f5db3d7, v1 :: v_dual_fmac_f32 v33, 0x3f5db3d7, v36
	s_delay_alu instid0(VALU_DEP_3) | instskip(NEXT) | instid1(VALU_DEP_4)
	v_add_f32_e32 v1, v25, v31
	v_add_f32_e32 v2, v29, v26
	s_delay_alu instid0(VALU_DEP_3) | instskip(NEXT) | instid1(VALU_DEP_4)
	v_dual_add_f32 v12, v15, v30 :: v_dual_add_f32 v3, v28, v32
	v_dual_add_f32 v13, v27, v33 :: v_dual_sub_f32 v14, v24, v14
	v_sub_f32_e32 v24, v29, v26
	v_dual_sub_f32 v26, v15, v30 :: v_dual_sub_f32 v15, v25, v31
	v_sub_f32_e32 v25, v28, v32
	v_sub_f32_e32 v27, v27, v33
	ds_store_2addr_b64 v62, v[0:1], v[2:3] offset1:11
	ds_store_2addr_b64 v62, v[12:13], v[14:15] offset0:22 offset1:33
	ds_store_2addr_b64 v62, v[24:25], v[26:27] offset0:44 offset1:55
	global_wb scope:SCOPE_SE
	s_wait_dscnt 0x0
	s_barrier_signal -1
	s_barrier_wait -1
	global_inv scope:SCOPE_SE
	s_and_saveexec_b32 s1, s0
	s_cbranch_execz .LBB0_19
; %bb.18:
	v_add_nc_u32_e32 v28, 0x800, v60
	v_add_nc_u32_e32 v29, 0x1000, v60
	ds_load_2addr_b64 v[0:3], v60 offset1:66
	ds_load_2addr_b64 v[12:15], v60 offset0:132 offset1:198
	ds_load_2addr_b64 v[24:27], v28 offset0:8 offset1:74
	ds_load_2addr_b64 v[48:51], v28 offset0:140 offset1:206
	ds_load_2addr_b64 v[44:47], v29 offset0:16 offset1:82
.LBB0_19:
	s_wait_alu 0xfffe
	s_or_b32 exec_lo, exec_lo, s1
	s_and_saveexec_b32 s1, s0
	s_cbranch_execz .LBB0_21
; %bb.20:
	s_wait_dscnt 0x2
	v_mul_f32_e32 v28, v7, v24
	s_wait_dscnt 0x1
	v_dual_mul_f32 v29, v23, v48 :: v_dual_mul_f32 v32, v21, v27
	v_mul_f32_e32 v30, v11, v12
	v_mul_f32_e32 v23, v23, v49
	v_fma_f32 v28, v6, v25, -v28
	s_delay_alu instid0(VALU_DEP_4)
	v_fma_f32 v29, v22, v49, -v29
	s_wait_dscnt 0x0
	v_mul_f32_e32 v31, v19, v44
	v_mul_f32_e32 v11, v11, v13
	;; [unrolled: 1-line block ×3, first 2 shown]
	v_fma_f32 v13, v10, v13, -v30
	v_fmac_f32_e32 v23, v22, v48
	v_fma_f32 v30, v18, v45, -v31
	v_dual_add_f32 v31, v29, v28 :: v_dual_fmac_f32 v32, v20, v26
	v_dual_mul_f32 v22, v58, v47 :: v_dual_mul_f32 v7, v7, v25
	v_fmac_f32_e32 v11, v10, v12
	v_fmac_f32_e32 v19, v18, v44
	s_delay_alu instid0(VALU_DEP_4) | instskip(SKIP_4) | instid1(VALU_DEP_4)
	v_fma_f32 v18, -0.5, v31, v1
	v_mul_f32_e32 v31, v5, v15
	v_dual_fmac_f32 v22, v57, v46 :: v_dual_fmac_f32 v7, v6, v24
	v_mul_f32_e32 v24, v17, v51
	v_dual_mul_f32 v6, v21, v26 :: v_dual_sub_f32 v25, v11, v19
	v_fmac_f32_e32 v31, v4, v14
	s_delay_alu instid0(VALU_DEP_3) | instskip(SKIP_1) | instid1(VALU_DEP_4)
	v_dual_mul_f32 v21, v9, v3 :: v_dual_fmac_f32 v24, v16, v50
	v_mul_f32_e32 v17, v17, v50
	v_fma_f32 v20, v20, v27, -v6
	v_mul_f32_e32 v6, v9, v2
	s_delay_alu instid0(VALU_DEP_4)
	v_fmac_f32_e32 v21, v8, v2
	v_mul_f32_e32 v2, v5, v14
	v_sub_f32_e32 v10, v13, v28
	v_sub_f32_e32 v12, v30, v29
	v_fma_f32 v3, v8, v3, -v6
	v_add_f32_e32 v8, v24, v32
	v_fma_f32 v9, v16, v51, -v17
	v_fma_f32 v14, v4, v15, -v2
	v_sub_f32_e32 v4, v31, v22
	v_add_f32_e32 v10, v12, v10
	v_sub_f32_e32 v2, v31, v32
	v_add_f32_e32 v6, v9, v20
	v_fma_f32 v16, -0.5, v8, v21
	v_dual_sub_f32 v27, v32, v24 :: v_dual_add_f32 v40, v22, v31
	v_sub_f32_e32 v43, v20, v14
	s_delay_alu instid0(VALU_DEP_4) | instskip(SKIP_3) | instid1(VALU_DEP_4)
	v_fma_f32 v15, -0.5, v6, v3
	v_dual_mul_f32 v5, v58, v46 :: v_dual_sub_f32 v36, v7, v23
	v_sub_f32_e32 v35, v20, v9
	v_fma_f32 v40, -0.5, v40, v21
	v_fmamk_f32 v26, v4, 0xbf737871, v15
	s_delay_alu instid0(VALU_DEP_4) | instskip(SKIP_3) | instid1(VALU_DEP_4)
	v_fma_f32 v5, v57, v47, -v5
	v_sub_f32_e32 v8, v14, v20
	v_sub_f32_e32 v33, v22, v24
	v_fmamk_f32 v47, v35, 0xbf737871, v40
	v_dual_fmac_f32 v26, 0xbf167918, v27 :: v_dual_sub_f32 v17, v5, v9
	v_sub_f32_e32 v6, v14, v5
	v_dual_add_f32 v37, v30, v13 :: v_dual_add_f32 v38, v5, v14
	v_sub_f32_e32 v41, v29, v30
	s_delay_alu instid0(VALU_DEP_4) | instskip(SKIP_4) | instid1(VALU_DEP_4)
	v_add_f32_e32 v8, v17, v8
	v_fmamk_f32 v17, v25, 0xbf737871, v18
	v_dual_fmamk_f32 v34, v6, 0x3f737871, v16 :: v_dual_add_f32 v33, v33, v2
	v_sub_f32_e32 v39, v28, v13
	v_fma_f32 v37, -0.5, v37, v1
	v_fmac_f32_e32 v17, 0xbf167918, v36
	s_delay_alu instid0(VALU_DEP_4) | instskip(SKIP_2) | instid1(VALU_DEP_4)
	v_fmac_f32_e32 v34, 0x3f167918, v35
	v_fma_f32 v38, -0.5, v38, v3
	v_dual_sub_f32 v44, v9, v5 :: v_dual_fmac_f32 v47, 0x3f167918, v6
	v_dual_fmac_f32 v17, 0x3e9e377a, v10 :: v_dual_fmac_f32 v26, 0x3e9e377a, v8
	s_delay_alu instid0(VALU_DEP_4) | instskip(NEXT) | instid1(VALU_DEP_4)
	v_fmac_f32_e32 v34, 0x3e9e377a, v33
	v_dual_fmamk_f32 v45, v27, 0x3f737871, v38 :: v_dual_sub_f32 v42, v32, v31
	v_dual_sub_f32 v46, v24, v22 :: v_dual_add_f32 v39, v41, v39
	s_delay_alu instid0(VALU_DEP_4) | instskip(SKIP_3) | instid1(VALU_DEP_4)
	v_mul_f32_e32 v12, 0xbf4f1bbd, v26
	v_dual_fmamk_f32 v48, v36, 0x3f737871, v37 :: v_dual_add_f32 v1, v13, v1
	v_add_f32_e32 v43, v44, v43
	v_dual_fmac_f32 v38, 0xbf737871, v27 :: v_dual_fmac_f32 v37, 0xbf737871, v36
	v_fmac_f32_e32 v12, 0x3f167918, v34
	v_dual_fmac_f32 v45, 0xbf167918, v4 :: v_dual_add_f32 v42, v46, v42
	v_dual_fmac_f32 v48, 0xbf167918, v25 :: v_dual_add_f32 v3, v14, v3
	s_delay_alu instid0(VALU_DEP_3) | instskip(SKIP_4) | instid1(VALU_DEP_4)
	v_sub_f32_e32 v2, v17, v12
	v_dual_fmac_f32 v40, 0x3f737871, v35 :: v_dual_fmac_f32 v15, 0x3f737871, v4
	v_dual_fmac_f32 v38, 0x3f167918, v4 :: v_dual_fmac_f32 v37, 0x3f167918, v25
	v_fmac_f32_e32 v45, 0x3e9e377a, v43
	v_dual_fmac_f32 v47, 0x3e9e377a, v42 :: v_dual_fmac_f32 v48, 0x3e9e377a, v39
	v_dual_fmac_f32 v40, 0xbf167918, v6 :: v_dual_add_f32 v1, v28, v1
	v_fmac_f32_e32 v15, 0x3f167918, v27
	v_fmac_f32_e32 v38, 0x3e9e377a, v43
	s_delay_alu instid0(VALU_DEP_3) | instskip(SKIP_1) | instid1(VALU_DEP_3)
	v_dual_fmac_f32 v37, 0x3e9e377a, v39 :: v_dual_fmac_f32 v40, 0x3e9e377a, v42
	v_sub_f32_e32 v13, v13, v30
	v_dual_fmac_f32 v15, 0x3e9e377a, v8 :: v_dual_mul_f32 v42, 0x3e9e377a, v38
	v_dual_add_f32 v3, v20, v3 :: v_dual_fmac_f32 v16, 0xbf737871, v6
	v_add_f32_e32 v1, v29, v1
	v_fmac_f32_e32 v18, 0x3f737871, v25
	s_delay_alu instid0(VALU_DEP_4) | instskip(SKIP_2) | instid1(VALU_DEP_4)
	v_fmac_f32_e32 v42, 0x3f737871, v40
	v_mul_f32_e32 v41, 0xbe9e377a, v45
	v_dual_mul_f32 v25, 0x3f4f1bbd, v15 :: v_dual_sub_f32 v14, v28, v29
	v_dual_fmac_f32 v18, 0x3f167918, v36 :: v_dual_add_f32 v3, v9, v3
	s_delay_alu instid0(VALU_DEP_3) | instskip(SKIP_1) | instid1(VALU_DEP_3)
	v_dual_sub_f32 v6, v37, v42 :: v_dual_fmac_f32 v41, 0x3f737871, v47
	v_add_f32_e32 v8, v23, v7
	v_fmac_f32_e32 v18, 0x3e9e377a, v10
	v_sub_f32_e32 v10, v19, v23
	v_mul_f32_e32 v26, 0xbf167918, v26
	v_add_f32_e32 v28, v5, v3
	v_fma_f32 v27, -0.5, v8, v0
	v_sub_f32_e32 v8, v11, v7
	v_fmac_f32_e32 v16, 0xbf167918, v35
	v_sub_f32_e32 v3, v7, v11
	v_dual_sub_f32 v5, v23, v19 :: v_dual_add_f32 v20, v30, v1
	s_delay_alu instid0(VALU_DEP_3) | instskip(SKIP_1) | instid1(VALU_DEP_3)
	v_dual_add_f32 v9, v10, v8 :: v_dual_fmac_f32 v16, 0x3e9e377a, v33
	v_fmamk_f32 v33, v13, 0x3f737871, v27
	v_dual_fmac_f32 v26, 0xbf4f1bbd, v34 :: v_dual_add_f32 v3, v5, v3
	v_add_f32_e32 v5, v31, v21
	s_delay_alu instid0(VALU_DEP_4) | instskip(NEXT) | instid1(VALU_DEP_4)
	v_fmac_f32_e32 v25, 0x3f167918, v16
	v_fmac_f32_e32 v33, 0x3f167918, v14
	;; [unrolled: 1-line block ×3, first 2 shown]
	v_sub_f32_e32 v4, v48, v41
	v_dual_add_f32 v5, v32, v5 :: v_dual_add_f32 v12, v17, v12
	s_delay_alu instid0(VALU_DEP_4) | instskip(NEXT) | instid1(VALU_DEP_4)
	v_dual_fmac_f32 v33, 0x3e9e377a, v9 :: v_dual_add_f32 v8, v19, v11
	v_fmac_f32_e32 v27, 0xbf167918, v14
	s_delay_alu instid0(VALU_DEP_2) | instskip(NEXT) | instid1(VALU_DEP_3)
	v_sub_f32_e32 v1, v33, v26
	v_fma_f32 v29, -0.5, v8, v0
	v_add_f32_e32 v0, v11, v0
	v_sub_f32_e32 v8, v18, v25
	v_fmac_f32_e32 v27, 0x3e9e377a, v9
	v_add_f32_e32 v18, v18, v25
	v_fmamk_f32 v30, v14, 0xbf737871, v29
	v_dual_fmac_f32 v29, 0x3f737871, v14 :: v_dual_sub_f32 v10, v20, v28
	v_dual_add_f32 v14, v48, v41 :: v_dual_add_f32 v11, v33, v26
	s_delay_alu instid0(VALU_DEP_3) | instskip(NEXT) | instid1(VALU_DEP_3)
	v_fmac_f32_e32 v30, 0x3f167918, v13
	v_dual_fmac_f32 v29, 0xbf167918, v13 :: v_dual_add_f32 v0, v7, v0
	v_mul_f32_e32 v7, 0xbf737871, v38
	s_delay_alu instid0(VALU_DEP_3) | instskip(NEXT) | instid1(VALU_DEP_3)
	v_fmac_f32_e32 v30, 0x3e9e377a, v3
	v_fmac_f32_e32 v29, 0x3e9e377a, v3
	s_delay_alu instid0(VALU_DEP_4) | instskip(NEXT) | instid1(VALU_DEP_4)
	v_dual_add_f32 v3, v24, v5 :: v_dual_add_f32 v0, v23, v0
	v_fmac_f32_e32 v7, 0x3e9e377a, v40
	v_mul_f32_e32 v34, 0xbf737871, v45
	v_mul_f32_e32 v21, 0xbf167918, v15
	s_delay_alu instid0(VALU_DEP_4) | instskip(NEXT) | instid1(VALU_DEP_4)
	v_dual_add_f32 v15, v22, v3 :: v_dual_add_f32 v0, v19, v0
	v_sub_f32_e32 v5, v29, v7
	s_delay_alu instid0(VALU_DEP_4) | instskip(NEXT) | instid1(VALU_DEP_4)
	v_fmac_f32_e32 v34, 0xbe9e377a, v47
	v_dual_fmac_f32 v21, 0x3f4f1bbd, v16 :: v_dual_add_f32 v16, v37, v42
	v_add_f32_e32 v20, v20, v28
	v_add_f32_e32 v19, v0, v15
	s_delay_alu instid0(VALU_DEP_4)
	v_add_f32_e32 v13, v30, v34
	v_sub_f32_e32 v3, v30, v34
	v_add_f32_e32 v17, v27, v21
	v_dual_sub_f32 v9, v0, v15 :: v_dual_add_nc_u32 v0, 0x800, v60
	v_add_f32_e32 v15, v29, v7
	v_sub_f32_e32 v7, v27, v21
	v_add_nc_u32_e32 v21, 0x1000, v60
	ds_store_2addr_b64 v60, v[19:20], v[17:18] offset1:66
	ds_store_2addr_b64 v60, v[15:16], v[13:14] offset0:132 offset1:198
	ds_store_2addr_b64 v0, v[11:12], v[9:10] offset0:8 offset1:74
	;; [unrolled: 1-line block ×4, first 2 shown]
.LBB0_21:
	s_wait_alu 0xfffe
	s_or_b32 exec_lo, exec_lo, s1
	global_wb scope:SCOPE_SE
	s_wait_dscnt 0x0
	s_barrier_signal -1
	s_barrier_wait -1
	global_inv scope:SCOPE_SE
	s_and_b32 exec_lo, exec_lo, vcc_lo
	s_cbranch_execz .LBB0_23
; %bb.22:
	s_clause 0xa
	global_load_b64 v[20:21], v60, s[12:13]
	global_load_b64 v[22:23], v60, s[12:13] offset:480
	global_load_b64 v[24:25], v60, s[12:13] offset:960
	;; [unrolled: 1-line block ×10, first 2 shown]
	v_mad_co_u64_u32 v[42:43], null, s6, v52, 0
	ds_load_b64 v[44:45], v60
	ds_load_2addr_b64 v[0:3], v60 offset0:60 offset1:120
	v_mad_co_u64_u32 v[46:47], null, s4, v59, 0
	v_add_nc_u32_e32 v13, 0x800, v60
	ds_load_2addr_b64 v[4:7], v60 offset0:180 offset1:240
	v_add_nc_u32_e32 v16, 0x1000, v60
	v_mov_b32_e32 v12, v43
	s_mov_b32 s0, 0x8d3018d3
	ds_load_2addr_b64 v[8:11], v13 offset0:44 offset1:104
	v_mov_b32_e32 v43, v47
	s_mov_b32 s1, 0x3f58d301
	v_mad_co_u64_u32 v[48:49], null, s7, v52, v[12:13]
	ds_load_2addr_b64 v[12:15], v13 offset0:164 offset1:224
	ds_load_2addr_b64 v[16:19], v16 offset0:28 offset1:88
	s_mul_u64 s[2:3], s[4:5], 0x1e0
	s_wait_dscnt 0x5
	v_mad_co_u64_u32 v[49:50], null, s5, v59, v[43:44]
	s_wait_loadcnt_dscnt 0x904
	v_dual_mov_b32 v43, v48 :: v_dual_mul_f32 v48, v1, v23
	v_mul_f32_e32 v47, v45, v21
	s_wait_loadcnt 0x8
	v_dual_mul_f32 v23, v0, v23 :: v_dual_mul_f32 v50, v3, v25
	v_mul_f32_e32 v21, v44, v21
	v_mul_f32_e32 v25, v2, v25
	s_wait_loadcnt_dscnt 0x603
	v_dual_mul_f32 v51, v5, v27 :: v_dual_mul_f32 v52, v7, v29
	s_wait_loadcnt_dscnt 0x402
	v_dual_mul_f32 v27, v4, v27 :: v_dual_mul_f32 v54, v11, v33
	v_mul_f32_e32 v29, v6, v29
	s_wait_loadcnt_dscnt 0x201
	v_dual_mul_f32 v53, v9, v31 :: v_dual_mul_f32 v56, v15, v37
	s_wait_loadcnt_dscnt 0x0
	v_dual_mul_f32 v31, v8, v31 :: v_dual_mul_f32 v58, v19, v41
	v_fmac_f32_e32 v48, v0, v22
	v_fmac_f32_e32 v47, v44, v20
	;; [unrolled: 1-line block ×3, first 2 shown]
	v_fma_f32 v20, v20, v45, -v21
	v_mul_f32_e32 v33, v10, v33
	v_fma_f32 v21, v22, v1, -v23
	v_dual_mul_f32 v55, v13, v35 :: v_dual_fmac_f32 v52, v6, v28
	v_dual_mul_f32 v35, v12, v35 :: v_dual_fmac_f32 v54, v10, v32
	v_fma_f32 v22, v24, v3, -v25
	v_mul_f32_e32 v37, v14, v37
	v_fmac_f32_e32 v51, v4, v26
	v_fma_f32 v23, v26, v5, -v27
	v_dual_mul_f32 v57, v17, v39 :: v_dual_fmac_f32 v56, v14, v36
	v_dual_mul_f32 v39, v16, v39 :: v_dual_fmac_f32 v58, v18, v40
	v_mul_f32_e32 v41, v18, v41
	v_fma_f32 v24, v28, v7, -v29
	v_fmac_f32_e32 v53, v8, v30
	v_fma_f32 v25, v30, v9, -v31
	v_cvt_f64_f32_e32 v[0:1], v47
	v_cvt_f64_f32_e32 v[2:3], v20
	v_fma_f32 v26, v32, v11, -v33
	v_cvt_f64_f32_e32 v[4:5], v48
	v_cvt_f64_f32_e32 v[6:7], v21
	v_fmac_f32_e32 v55, v12, v34
	v_fma_f32 v30, v34, v13, -v35
	v_cvt_f64_f32_e32 v[8:9], v50
	v_cvt_f64_f32_e32 v[10:11], v22
	v_fma_f32 v34, v36, v15, -v37
	v_cvt_f64_f32_e32 v[12:13], v51
	v_cvt_f64_f32_e32 v[14:15], v23
	v_fmac_f32_e32 v57, v16, v38
	v_fma_f32 v38, v38, v17, -v39
	v_fma_f32 v44, v40, v19, -v41
	v_cvt_f64_f32_e32 v[16:17], v52
	v_cvt_f64_f32_e32 v[18:19], v24
	;; [unrolled: 1-line block ×14, first 2 shown]
	v_mov_b32_e32 v47, v49
	v_lshlrev_b64_e32 v[42:43], 3, v[42:43]
	s_delay_alu instid0(VALU_DEP_2) | instskip(NEXT) | instid1(VALU_DEP_2)
	v_lshlrev_b64_e32 v[46:47], 3, v[46:47]
	v_add_co_u32 v42, vcc_lo, s8, v42
	s_wait_alu 0xfffe
	v_mul_f64_e32 v[0:1], s[0:1], v[0:1]
	v_mul_f64_e32 v[2:3], s[0:1], v[2:3]
	v_add_co_ci_u32_e32 v43, vcc_lo, s9, v43, vcc_lo
	v_mul_f64_e32 v[4:5], s[0:1], v[4:5]
	v_mul_f64_e32 v[6:7], s[0:1], v[6:7]
	v_add_co_u32 v42, vcc_lo, v42, v46
	v_mul_f64_e32 v[8:9], s[0:1], v[8:9]
	v_mul_f64_e32 v[10:11], s[0:1], v[10:11]
	v_mul_f64_e32 v[12:13], s[0:1], v[12:13]
	v_mul_f64_e32 v[14:15], s[0:1], v[14:15]
	s_wait_alu 0xfffd
	v_add_co_ci_u32_e32 v43, vcc_lo, v43, v47, vcc_lo
	v_add_co_u32 v46, vcc_lo, v42, s2
	v_mul_f64_e32 v[16:17], s[0:1], v[16:17]
	v_mul_f64_e32 v[18:19], s[0:1], v[18:19]
	;; [unrolled: 1-line block ×14, first 2 shown]
	s_wait_alu 0xfffd
	v_add_co_ci_u32_e32 v47, vcc_lo, s3, v43, vcc_lo
	v_add_co_u32 v48, vcc_lo, v46, s2
	s_wait_alu 0xfffd
	s_delay_alu instid0(VALU_DEP_2) | instskip(NEXT) | instid1(VALU_DEP_2)
	v_add_co_ci_u32_e32 v49, vcc_lo, s3, v47, vcc_lo
	v_add_co_u32 v50, vcc_lo, v48, s2
	v_cvt_f32_f64_e32 v0, v[0:1]
	v_cvt_f32_f64_e32 v1, v[2:3]
	s_wait_alu 0xfffd
	v_add_co_ci_u32_e32 v51, vcc_lo, s3, v49, vcc_lo
	v_cvt_f32_f64_e32 v2, v[4:5]
	v_cvt_f32_f64_e32 v3, v[6:7]
	v_add_co_u32 v52, vcc_lo, v50, s2
	v_cvt_f32_f64_e32 v4, v[8:9]
	v_cvt_f32_f64_e32 v5, v[10:11]
	;; [unrolled: 1-line block ×4, first 2 shown]
	s_wait_alu 0xfffd
	v_add_co_ci_u32_e32 v53, vcc_lo, s3, v51, vcc_lo
	v_cvt_f32_f64_e32 v8, v[16:17]
	v_cvt_f32_f64_e32 v9, v[18:19]
	;; [unrolled: 1-line block ×14, first 2 shown]
	v_add_co_u32 v22, vcc_lo, v52, s2
	s_wait_alu 0xfffd
	v_add_co_ci_u32_e32 v23, vcc_lo, s3, v53, vcc_lo
	s_delay_alu instid0(VALU_DEP_2) | instskip(SKIP_1) | instid1(VALU_DEP_2)
	v_add_co_u32 v24, vcc_lo, v22, s2
	s_wait_alu 0xfffd
	v_add_co_ci_u32_e32 v25, vcc_lo, s3, v23, vcc_lo
	s_delay_alu instid0(VALU_DEP_2) | instskip(SKIP_1) | instid1(VALU_DEP_2)
	;; [unrolled: 4-line block ×5, first 2 shown]
	v_add_co_u32 v32, vcc_lo, v30, s2
	s_wait_alu 0xfffd
	v_add_co_ci_u32_e32 v33, vcc_lo, s3, v31, vcc_lo
	s_clause 0x4
	global_store_b64 v[42:43], v[0:1], off
	global_store_b64 v[46:47], v[2:3], off
	global_store_b64 v[48:49], v[4:5], off
	global_store_b64 v[50:51], v[6:7], off
	global_store_b64 v[52:53], v[8:9], off
	global_store_b64 v[22:23], v[10:11], off
	global_store_b64 v[24:25], v[12:13], off
	global_store_b64 v[26:27], v[14:15], off
	global_store_b64 v[28:29], v[16:17], off
	global_store_b64 v[30:31], v[18:19], off
	global_store_b64 v[32:33], v[20:21], off
.LBB0_23:
	s_nop 0
	s_sendmsg sendmsg(MSG_DEALLOC_VGPRS)
	s_endpgm
	.section	.rodata,"a",@progbits
	.p2align	6, 0x0
	.amdhsa_kernel bluestein_single_back_len660_dim1_sp_op_CI_CI
		.amdhsa_group_segment_fixed_size 5280
		.amdhsa_private_segment_fixed_size 0
		.amdhsa_kernarg_size 104
		.amdhsa_user_sgpr_count 2
		.amdhsa_user_sgpr_dispatch_ptr 0
		.amdhsa_user_sgpr_queue_ptr 0
		.amdhsa_user_sgpr_kernarg_segment_ptr 1
		.amdhsa_user_sgpr_dispatch_id 0
		.amdhsa_user_sgpr_private_segment_size 0
		.amdhsa_wavefront_size32 1
		.amdhsa_uses_dynamic_stack 0
		.amdhsa_enable_private_segment 0
		.amdhsa_system_sgpr_workgroup_id_x 1
		.amdhsa_system_sgpr_workgroup_id_y 0
		.amdhsa_system_sgpr_workgroup_id_z 0
		.amdhsa_system_sgpr_workgroup_info 0
		.amdhsa_system_vgpr_workitem_id 0
		.amdhsa_next_free_vgpr 158
		.amdhsa_next_free_sgpr 14
		.amdhsa_reserve_vcc 1
		.amdhsa_float_round_mode_32 0
		.amdhsa_float_round_mode_16_64 0
		.amdhsa_float_denorm_mode_32 3
		.amdhsa_float_denorm_mode_16_64 3
		.amdhsa_fp16_overflow 0
		.amdhsa_workgroup_processor_mode 1
		.amdhsa_memory_ordered 1
		.amdhsa_forward_progress 0
		.amdhsa_round_robin_scheduling 0
		.amdhsa_exception_fp_ieee_invalid_op 0
		.amdhsa_exception_fp_denorm_src 0
		.amdhsa_exception_fp_ieee_div_zero 0
		.amdhsa_exception_fp_ieee_overflow 0
		.amdhsa_exception_fp_ieee_underflow 0
		.amdhsa_exception_fp_ieee_inexact 0
		.amdhsa_exception_int_div_zero 0
	.end_amdhsa_kernel
	.text
.Lfunc_end0:
	.size	bluestein_single_back_len660_dim1_sp_op_CI_CI, .Lfunc_end0-bluestein_single_back_len660_dim1_sp_op_CI_CI
                                        ; -- End function
	.section	.AMDGPU.csdata,"",@progbits
; Kernel info:
; codeLenInByte = 11656
; NumSgprs: 16
; NumVgprs: 158
; ScratchSize: 0
; MemoryBound: 0
; FloatMode: 240
; IeeeMode: 1
; LDSByteSize: 5280 bytes/workgroup (compile time only)
; SGPRBlocks: 1
; VGPRBlocks: 19
; NumSGPRsForWavesPerEU: 16
; NumVGPRsForWavesPerEU: 158
; Occupancy: 9
; WaveLimiterHint : 1
; COMPUTE_PGM_RSRC2:SCRATCH_EN: 0
; COMPUTE_PGM_RSRC2:USER_SGPR: 2
; COMPUTE_PGM_RSRC2:TRAP_HANDLER: 0
; COMPUTE_PGM_RSRC2:TGID_X_EN: 1
; COMPUTE_PGM_RSRC2:TGID_Y_EN: 0
; COMPUTE_PGM_RSRC2:TGID_Z_EN: 0
; COMPUTE_PGM_RSRC2:TIDIG_COMP_CNT: 0
	.text
	.p2alignl 7, 3214868480
	.fill 96, 4, 3214868480
	.type	__hip_cuid_2d9f2c84a9a1eca6,@object ; @__hip_cuid_2d9f2c84a9a1eca6
	.section	.bss,"aw",@nobits
	.globl	__hip_cuid_2d9f2c84a9a1eca6
__hip_cuid_2d9f2c84a9a1eca6:
	.byte	0                               ; 0x0
	.size	__hip_cuid_2d9f2c84a9a1eca6, 1

	.ident	"AMD clang version 19.0.0git (https://github.com/RadeonOpenCompute/llvm-project roc-6.4.0 25133 c7fe45cf4b819c5991fe208aaa96edf142730f1d)"
	.section	".note.GNU-stack","",@progbits
	.addrsig
	.addrsig_sym __hip_cuid_2d9f2c84a9a1eca6
	.amdgpu_metadata
---
amdhsa.kernels:
  - .args:
      - .actual_access:  read_only
        .address_space:  global
        .offset:         0
        .size:           8
        .value_kind:     global_buffer
      - .actual_access:  read_only
        .address_space:  global
        .offset:         8
        .size:           8
        .value_kind:     global_buffer
      - .actual_access:  read_only
        .address_space:  global
        .offset:         16
        .size:           8
        .value_kind:     global_buffer
      - .actual_access:  read_only
        .address_space:  global
        .offset:         24
        .size:           8
        .value_kind:     global_buffer
      - .actual_access:  read_only
        .address_space:  global
        .offset:         32
        .size:           8
        .value_kind:     global_buffer
      - .offset:         40
        .size:           8
        .value_kind:     by_value
      - .address_space:  global
        .offset:         48
        .size:           8
        .value_kind:     global_buffer
      - .address_space:  global
        .offset:         56
        .size:           8
        .value_kind:     global_buffer
      - .address_space:  global
        .offset:         64
        .size:           8
        .value_kind:     global_buffer
      - .address_space:  global
        .offset:         72
        .size:           8
        .value_kind:     global_buffer
      - .offset:         80
        .size:           4
        .value_kind:     by_value
      - .address_space:  global
        .offset:         88
        .size:           8
        .value_kind:     global_buffer
      - .address_space:  global
        .offset:         96
        .size:           8
        .value_kind:     global_buffer
    .group_segment_fixed_size: 5280
    .kernarg_segment_align: 8
    .kernarg_segment_size: 104
    .language:       OpenCL C
    .language_version:
      - 2
      - 0
    .max_flat_workgroup_size: 110
    .name:           bluestein_single_back_len660_dim1_sp_op_CI_CI
    .private_segment_fixed_size: 0
    .sgpr_count:     16
    .sgpr_spill_count: 0
    .symbol:         bluestein_single_back_len660_dim1_sp_op_CI_CI.kd
    .uniform_work_group_size: 1
    .uses_dynamic_stack: false
    .vgpr_count:     158
    .vgpr_spill_count: 0
    .wavefront_size: 32
    .workgroup_processor_mode: 1
amdhsa.target:   amdgcn-amd-amdhsa--gfx1201
amdhsa.version:
  - 1
  - 2
...

	.end_amdgpu_metadata
